;; amdgpu-corpus repo=ROCm/rocFFT kind=compiled arch=gfx1201 opt=O3
	.text
	.amdgcn_target "amdgcn-amd-amdhsa--gfx1201"
	.amdhsa_code_object_version 6
	.protected	bluestein_single_back_len825_dim1_dp_op_CI_CI ; -- Begin function bluestein_single_back_len825_dim1_dp_op_CI_CI
	.globl	bluestein_single_back_len825_dim1_dp_op_CI_CI
	.p2align	8
	.type	bluestein_single_back_len825_dim1_dp_op_CI_CI,@function
bluestein_single_back_len825_dim1_dp_op_CI_CI: ; @bluestein_single_back_len825_dim1_dp_op_CI_CI
; %bb.0:
	s_load_b128 s[12:15], s[0:1], 0x28
	v_mul_u32_u24_e32 v1, 0x4a8, v0
	s_mov_b32 s2, exec_lo
	v_mov_b32_e32 v5, 0
	s_delay_alu instid0(VALU_DEP_2) | instskip(NEXT) | instid1(VALU_DEP_1)
	v_lshrrev_b32_e32 v1, 16, v1
	v_add_nc_u32_e32 v4, ttmp9, v1
	s_wait_kmcnt 0x0
	s_delay_alu instid0(VALU_DEP_1)
	v_cmpx_gt_u64_e64 s[12:13], v[4:5]
	s_cbranch_execz .LBB0_15
; %bb.1:
	s_clause 0x1
	s_load_b128 s[4:7], s[0:1], 0x18
	s_load_b64 s[12:13], s[0:1], 0x0
	v_mul_lo_u16 v1, v1, 55
	s_delay_alu instid0(VALU_DEP_1) | instskip(NEXT) | instid1(VALU_DEP_1)
	v_sub_nc_u16 v39, v0, v1
	v_and_b32_e32 v7, 0xffff, v39
	v_mov_b32_e32 v5, v4
	s_clause 0x1
	scratch_store_b32 off, v7, off
	scratch_store_b64 off, v[5:6], off offset:212
	s_wait_kmcnt 0x0
	s_load_b128 s[8:11], s[4:5], 0x0
	s_wait_kmcnt 0x0
	v_mad_co_u64_u32 v[0:1], null, s10, v4, 0
	v_mad_co_u64_u32 v[2:3], null, s8, v7, 0
	s_mul_u64 s[2:3], s[8:9], 0x4b
	s_delay_alu instid0(VALU_DEP_1) | instskip(NEXT) | instid1(VALU_DEP_1)
	v_mad_co_u64_u32 v[4:5], null, s11, v4, v[1:2]
	v_mad_co_u64_u32 v[5:6], null, s9, v7, v[3:4]
	v_dual_mov_b32 v1, v4 :: v_dual_lshlrev_b32 v4, 4, v7
	s_clause 0x3
	global_load_b128 v[40:43], v4, s[12:13]
	global_load_b128 v[96:99], v4, s[12:13] offset:1200
	global_load_b128 v[100:103], v4, s[12:13] offset:2400
	;; [unrolled: 1-line block ×3, first 2 shown]
	v_mov_b32_e32 v3, v5
	v_lshlrev_b64_e32 v[0:1], 4, v[0:1]
	s_clause 0x3
	global_load_b128 v[108:111], v4, s[12:13] offset:4800
	global_load_b128 v[112:115], v4, s[12:13] offset:6000
	global_load_b128 v[116:119], v4, s[12:13] offset:7200
	global_load_b128 v[120:123], v4, s[12:13] offset:8400
	v_lshlrev_b64_e32 v[2:3], 4, v[2:3]
	v_add_co_u32 v0, vcc_lo, s14, v0
	v_add_co_ci_u32_e32 v1, vcc_lo, s15, v1, vcc_lo
	s_lshl_b64 s[14:15], s[2:3], 4
	s_delay_alu instid0(VALU_DEP_2) | instskip(SKIP_1) | instid1(VALU_DEP_2)
	v_add_co_u32 v0, vcc_lo, v0, v2
	s_wait_alu 0xfffd
	v_add_co_ci_u32_e32 v1, vcc_lo, v1, v3, vcc_lo
	v_add_co_u32 v252, s2, s12, v4
	s_wait_alu 0xfffe
	v_add_co_u32 v2, vcc_lo, v0, s14
	s_wait_alu 0xfffd
	v_add_co_ci_u32_e32 v3, vcc_lo, s15, v1, vcc_lo
	s_clause 0x1
	global_load_b128 v[5:8], v[0:1], off
	global_load_b128 v[44:47], v[2:3], off
	v_add_co_u32 v9, vcc_lo, v2, s14
	s_wait_alu 0xfffd
	v_add_co_ci_u32_e32 v10, vcc_lo, s15, v3, vcc_lo
	v_add_co_ci_u32_e64 v253, null, s13, 0, s2
	s_delay_alu instid0(VALU_DEP_3) | instskip(SKIP_1) | instid1(VALU_DEP_3)
	v_add_co_u32 v11, vcc_lo, v9, s14
	s_wait_alu 0xfffd
	v_add_co_ci_u32_e32 v12, vcc_lo, s15, v10, vcc_lo
	s_clause 0x1
	global_load_b128 v[48:51], v[9:10], off
	global_load_b128 v[52:55], v[11:12], off
	v_add_co_u32 v0, vcc_lo, v11, s14
	s_wait_alu 0xfffd
	v_add_co_ci_u32_e32 v1, vcc_lo, s15, v12, vcc_lo
	s_delay_alu instid0(VALU_DEP_2) | instskip(SKIP_1) | instid1(VALU_DEP_2)
	v_add_co_u32 v2, vcc_lo, v0, s14
	s_wait_alu 0xfffd
	v_add_co_ci_u32_e32 v3, vcc_lo, s15, v1, vcc_lo
	global_load_b128 v[56:59], v[0:1], off
	v_add_co_u32 v0, vcc_lo, v2, s14
	s_wait_alu 0xfffd
	v_add_co_ci_u32_e32 v1, vcc_lo, s15, v3, vcc_lo
	global_load_b128 v[60:63], v[2:3], off
	v_add_co_u32 v2, vcc_lo, v0, s14
	s_wait_alu 0xfffd
	v_add_co_ci_u32_e32 v3, vcc_lo, s15, v1, vcc_lo
	global_load_b128 v[64:67], v[0:1], off
	v_add_co_u32 v0, vcc_lo, v2, s14
	s_wait_alu 0xfffd
	v_add_co_ci_u32_e32 v1, vcc_lo, s15, v3, vcc_lo
	global_load_b128 v[68:71], v[2:3], off
	v_add_co_u32 v2, vcc_lo, v0, s14
	s_wait_alu 0xfffd
	v_add_co_ci_u32_e32 v3, vcc_lo, s15, v1, vcc_lo
	global_load_b128 v[72:75], v[0:1], off
	v_add_co_u32 v0, vcc_lo, v2, s14
	s_wait_alu 0xfffd
	v_add_co_ci_u32_e32 v1, vcc_lo, s15, v3, vcc_lo
	s_clause 0x1
	global_load_b128 v[128:131], v4, s[12:13] offset:9600
	global_load_b128 v[124:127], v4, s[12:13] offset:10800
	global_load_b128 v[76:79], v[2:3], off
	global_load_b128 v[132:135], v4, s[12:13] offset:12000
	global_load_b128 v[80:83], v[0:1], off
	v_cmp_gt_u16_e32 vcc_lo, 20, v39
	s_wait_loadcnt 0x15
	scratch_store_b128 off, v[40:43], off offset:100 ; 16-byte Folded Spill
	s_wait_loadcnt 0x14
	scratch_store_b128 off, v[96:99], off offset:116 ; 16-byte Folded Spill
	;; [unrolled: 2-line block ×8, first 2 shown]
	s_wait_loadcnt 0xd
	v_mul_f64_e32 v[2:3], v[7:8], v[42:43]
	v_mul_f64_e32 v[9:10], v[5:6], v[42:43]
	s_wait_loadcnt 0xc
	v_mul_f64_e32 v[11:12], v[46:47], v[98:99]
	v_mul_f64_e32 v[13:14], v[44:45], v[98:99]
	s_wait_loadcnt 0xb
	v_mul_f64_e32 v[15:16], v[50:51], v[102:103]
	v_mul_f64_e32 v[17:18], v[48:49], v[102:103]
	s_wait_loadcnt 0xa
	v_mul_f64_e32 v[19:20], v[54:55], v[106:107]
	v_mul_f64_e32 v[21:22], v[52:53], v[106:107]
	s_wait_loadcnt 0x9
	v_mul_f64_e32 v[23:24], v[58:59], v[110:111]
	v_mul_f64_e32 v[25:26], v[56:57], v[110:111]
	s_wait_loadcnt 0x8
	v_mul_f64_e32 v[27:28], v[62:63], v[114:115]
	v_mul_f64_e32 v[29:30], v[60:61], v[114:115]
	s_wait_loadcnt 0x7
	v_mul_f64_e32 v[31:32], v[66:67], v[118:119]
	v_mul_f64_e32 v[33:34], v[64:65], v[118:119]
	v_fma_f64 v[5:6], v[5:6], v[40:41], v[2:3]
	s_wait_loadcnt 0x6
	v_mul_f64_e32 v[35:36], v[70:71], v[122:123]
	v_mul_f64_e32 v[37:38], v[68:69], v[122:123]
	v_fma_f64 v[7:8], v[7:8], v[40:41], -v[9:10]
	v_fma_f64 v[44:45], v[44:45], v[96:97], v[11:12]
	v_fma_f64 v[46:47], v[46:47], v[96:97], -v[13:14]
	s_wait_loadcnt 0x4
	v_mul_f64_e32 v[84:85], v[74:75], v[130:131]
	v_mul_f64_e32 v[86:87], v[72:73], v[130:131]
	s_wait_loadcnt 0x2
	v_mul_f64_e32 v[88:89], v[78:79], v[126:127]
	v_mul_f64_e32 v[90:91], v[76:77], v[126:127]
	;; [unrolled: 3-line block ×3, first 2 shown]
	v_fma_f64 v[48:49], v[48:49], v[100:101], v[15:16]
	v_fma_f64 v[50:51], v[50:51], v[100:101], -v[17:18]
	v_fma_f64 v[52:53], v[52:53], v[104:105], v[19:20]
	v_fma_f64 v[54:55], v[54:55], v[104:105], -v[21:22]
	s_clause 0x2
	scratch_store_b128 off, v[128:131], off offset:252
	scratch_store_b128 off, v[124:127], off offset:236
	;; [unrolled: 1-line block ×3, first 2 shown]
	s_load_b64 s[10:11], s[0:1], 0x38
	s_load_b128 s[4:7], s[6:7], 0x0
	v_fma_f64 v[56:57], v[56:57], v[108:109], v[23:24]
	v_fma_f64 v[58:59], v[58:59], v[108:109], -v[25:26]
	v_fma_f64 v[60:61], v[60:61], v[112:113], v[27:28]
	v_fma_f64 v[62:63], v[62:63], v[112:113], -v[29:30]
	ds_store_b128 v4, v[5:8]
	ds_store_b128 v4, v[44:47] offset:1200
	ds_store_b128 v4, v[48:51] offset:2400
	;; [unrolled: 1-line block ×5, first 2 shown]
	v_fma_f64 v[64:65], v[64:65], v[116:117], v[31:32]
	v_fma_f64 v[66:67], v[66:67], v[116:117], -v[33:34]
	v_fma_f64 v[68:69], v[68:69], v[120:121], v[35:36]
	v_fma_f64 v[70:71], v[70:71], v[120:121], -v[37:38]
	;; [unrolled: 2-line block ×5, first 2 shown]
	ds_store_b128 v4, v[64:67] offset:7200
	ds_store_b128 v4, v[68:71] offset:8400
	;; [unrolled: 1-line block ×5, first 2 shown]
	s_and_saveexec_b32 s3, vcc_lo
	s_cbranch_execz .LBB0_3
; %bb.2:
	v_mad_co_u64_u32 v[9:10], null, 0xffffd490, s8, v[0:1]
	s_mul_i32 s2, s9, 0xffffd490
	s_clause 0x1
	global_load_b128 v[0:3], v[252:253], off offset:880
	global_load_b128 v[5:8], v[252:253], off offset:2080
	s_wait_alu 0xfffe
	s_sub_co_i32 s2, s2, s8
	s_clause 0x3
	global_load_b128 v[44:47], v[252:253], off offset:3280
	global_load_b128 v[48:51], v[252:253], off offset:4480
	global_load_b128 v[52:55], v[252:253], off offset:5680
	global_load_b128 v[56:59], v[252:253], off offset:6880
	s_wait_alu 0xfffe
	v_add_nc_u32_e32 v10, s2, v10
	v_add_co_u32 v11, s2, v9, s14
	s_wait_alu 0xf1ff
	s_delay_alu instid0(VALU_DEP_2) | instskip(NEXT) | instid1(VALU_DEP_2)
	v_add_co_ci_u32_e64 v12, s2, s15, v10, s2
	v_add_co_u32 v13, s2, v11, s14
	global_load_b128 v[60:63], v[9:10], off
	s_wait_alu 0xf1ff
	v_add_co_ci_u32_e64 v14, s2, s15, v12, s2
	v_add_co_u32 v15, s2, v13, s14
	global_load_b128 v[64:67], v[11:12], off
	s_wait_alu 0xf1ff
	;; [unrolled: 4-line block ×3, first 2 shown]
	v_add_co_ci_u32_e64 v18, s2, s15, v16, s2
	v_add_co_u32 v9, s2, v17, s14
	s_wait_alu 0xf1ff
	s_delay_alu instid0(VALU_DEP_2) | instskip(NEXT) | instid1(VALU_DEP_2)
	v_add_co_ci_u32_e64 v10, s2, s15, v18, s2
	v_add_co_u32 v11, s2, v9, s14
	s_wait_alu 0xf1ff
	s_delay_alu instid0(VALU_DEP_2) | instskip(NEXT) | instid1(VALU_DEP_2)
	v_add_co_ci_u32_e64 v12, s2, s15, v10, s2
	v_add_co_u32 v13, s2, v11, s14
	s_wait_alu 0xf1ff
	s_delay_alu instid0(VALU_DEP_2)
	v_add_co_ci_u32_e64 v14, s2, s15, v12, s2
	global_load_b128 v[72:75], v[15:16], off
	global_load_b128 v[76:79], v[17:18], off
	;; [unrolled: 1-line block ×5, first 2 shown]
	v_add_co_u32 v9, s2, v13, s14
	s_wait_alu 0xf1ff
	v_add_co_ci_u32_e64 v10, s2, s15, v14, s2
	s_clause 0x1
	global_load_b128 v[92:95], v[252:253], off offset:8080
	global_load_b128 v[96:99], v[252:253], off offset:9280
	v_add_co_u32 v11, s2, v9, s14
	s_wait_alu 0xf1ff
	v_add_co_ci_u32_e64 v12, s2, s15, v10, s2
	global_load_b128 v[100:103], v[9:10], off
	v_add_co_u32 v9, s2, v11, s14
	s_wait_alu 0xf1ff
	v_add_co_ci_u32_e64 v10, s2, s15, v12, s2
	global_load_b128 v[104:107], v[252:253], off offset:10480
	global_load_b128 v[108:111], v[11:12], off
	s_clause 0x1
	global_load_b128 v[112:115], v[252:253], off offset:11680
	global_load_b128 v[116:119], v[252:253], off offset:12880
	global_load_b128 v[120:123], v[9:10], off
	s_wait_loadcnt 0xf
	v_mul_f64_e32 v[9:10], v[62:63], v[2:3]
	v_mul_f64_e32 v[2:3], v[60:61], v[2:3]
	s_wait_loadcnt 0xe
	v_mul_f64_e32 v[11:12], v[66:67], v[7:8]
	v_mul_f64_e32 v[13:14], v[64:65], v[7:8]
	;; [unrolled: 3-line block ×8, first 2 shown]
	v_fma_f64 v[7:8], v[60:61], v[0:1], v[9:10]
	s_wait_loadcnt 0x4
	v_mul_f64_e32 v[94:95], v[102:103], v[106:107]
	v_mul_f64_e32 v[98:99], v[100:101], v[106:107]
	s_wait_loadcnt 0x2
	v_mul_f64_e32 v[106:107], v[110:111], v[114:115]
	v_mul_f64_e32 v[114:115], v[108:109], v[114:115]
	;; [unrolled: 3-line block ×3, first 2 shown]
	v_fma_f64 v[9:10], v[62:63], v[0:1], -v[2:3]
	v_fma_f64 v[0:1], v[64:65], v[5:6], v[11:12]
	v_fma_f64 v[2:3], v[66:67], v[5:6], -v[13:14]
	v_fma_f64 v[58:59], v[68:69], v[44:45], v[15:16]
	;; [unrolled: 2-line block ×10, first 2 shown]
	v_fma_f64 v[80:81], v[122:123], v[116:117], -v[118:119]
	ds_store_b128 v4, v[7:10] offset:880
	ds_store_b128 v4, v[0:3] offset:2080
	;; [unrolled: 1-line block ×11, first 2 shown]
.LBB0_3:
	s_wait_alu 0xfffe
	s_or_b32 exec_lo, exec_lo, s3
	global_wb scope:SCOPE_SE
	s_wait_storecnt_dscnt 0x0
	s_wait_kmcnt 0x0
	s_barrier_signal -1
	s_barrier_wait -1
	global_inv scope:SCOPE_SE
	ds_load_b128 v[44:47], v4
	ds_load_b128 v[52:55], v4 offset:1200
	ds_load_b128 v[60:63], v4 offset:2400
	;; [unrolled: 1-line block ×10, first 2 shown]
	s_load_b64 s[2:3], s[0:1], 0x8
                                        ; implicit-def: $vgpr64_vgpr65
                                        ; implicit-def: $vgpr68_vgpr69
                                        ; implicit-def: $vgpr92_vgpr93
                                        ; implicit-def: $vgpr104_vgpr105
                                        ; implicit-def: $vgpr112_vgpr113
                                        ; implicit-def: $vgpr108_vgpr109
                                        ; implicit-def: $vgpr100_vgpr101
                                        ; implicit-def: $vgpr96_vgpr97
                                        ; implicit-def: $vgpr84_vgpr85
                                        ; implicit-def: $vgpr72_vgpr73
                                        ; implicit-def: $vgpr88_vgpr89
	s_and_saveexec_b32 s0, vcc_lo
	s_cbranch_execz .LBB0_5
; %bb.4:
	ds_load_b128 v[64:67], v4 offset:880
	ds_load_b128 v[68:71], v4 offset:2080
	ds_load_b128 v[92:95], v4 offset:3280
	ds_load_b128 v[104:107], v4 offset:4480
	ds_load_b128 v[112:115], v4 offset:5680
	ds_load_b128 v[108:111], v4 offset:6880
	ds_load_b128 v[100:103], v4 offset:8080
	ds_load_b128 v[96:99], v4 offset:9280
	ds_load_b128 v[84:87], v4 offset:10480
	ds_load_b128 v[72:75], v4 offset:11680
	ds_load_b128 v[88:91], v4 offset:12880
.LBB0_5:
	s_wait_alu 0xfffe
	s_or_b32 exec_lo, exec_lo, s0
	s_wait_dscnt 0x9
	v_add_f64_e32 v[0:1], v[44:45], v[52:53]
	v_add_f64_e32 v[2:3], v[46:47], v[54:55]
	s_wait_dscnt 0x0
	v_add_f64_e64 v[5:6], v[54:55], -v[50:51]
	s_mov_b32 s26, 0xf8bb580b
	s_mov_b32 s28, 0x8eee2c13
	;; [unrolled: 1-line block ×10, first 2 shown]
	v_add_f64_e32 v[144:145], v[120:121], v[116:117]
	v_add_f64_e32 v[146:147], v[122:123], v[118:119]
	v_add_f64_e64 v[148:149], v[120:121], -v[116:117]
	v_add_f64_e64 v[150:151], v[122:123], -v[118:119]
	v_add_f64_e32 v[7:8], v[52:53], v[48:49]
	v_add_f64_e64 v[11:12], v[52:53], -v[48:49]
	s_mov_b32 s0, 0x8764f0ba
	s_mov_b32 s18, 0xd9c712b6
	;; [unrolled: 1-line block ×10, first 2 shown]
	v_add_f64_e32 v[9:10], v[54:55], v[50:51]
	v_add_f64_e32 v[154:155], v[82:83], v[78:79]
	;; [unrolled: 1-line block ×3, first 2 shown]
	v_add_f64_e64 v[142:143], v[130:131], -v[126:127]
	v_add_f64_e32 v[136:137], v[128:129], v[124:125]
	v_add_f64_e64 v[140:141], v[128:129], -v[124:125]
	v_add_f64_e32 v[138:139], v[130:131], v[126:127]
	s_mov_b32 s37, 0x3fd207e7
	s_mov_b32 s36, s24
	v_add_f64_e32 v[0:1], v[0:1], v[60:61]
	v_add_f64_e32 v[2:3], v[2:3], v[62:63]
	v_mul_f64_e32 v[13:14], s[20:21], v[5:6]
	v_mul_f64_e32 v[15:16], s[22:23], v[5:6]
	s_mov_b32 s35, 0x3fefac9e
	s_mov_b32 s34, s20
	;; [unrolled: 1-line block ×6, first 2 shown]
	v_add_f64_e32 v[166:167], v[68:69], v[88:89]
	v_add_f64_e32 v[162:163], v[92:93], v[72:73]
	;; [unrolled: 1-line block ×7, first 2 shown]
	v_mul_f64_e32 v[27:28], s[28:29], v[11:12]
	v_mul_f64_e32 v[29:30], s[20:21], v[11:12]
	;; [unrolled: 1-line block ×3, first 2 shown]
	v_add_f64_e32 v[0:1], v[0:1], v[80:81]
	v_add_f64_e32 v[2:3], v[2:3], v[82:83]
	v_fma_f64 v[21:22], v[7:8], s[16:17], -v[13:14]
	v_fma_f64 v[13:14], v[7:8], s[16:17], v[13:14]
	s_wait_alu 0xfffe
	v_fma_f64 v[23:24], v[7:8], s[8:9], -v[15:16]
	v_fma_f64 v[15:16], v[7:8], s[8:9], v[15:16]
	v_add_f64_e64 v[82:83], v[82:83], -v[78:79]
	v_add_f64_e64 v[80:81], v[80:81], -v[76:77]
	v_fma_f64 v[35:36], v[9:10], s[18:19], v[27:28]
	v_fma_f64 v[27:28], v[9:10], s[18:19], -v[27:28]
	v_fma_f64 v[37:38], v[9:10], s[16:17], v[29:30]
	v_fma_f64 v[29:30], v[9:10], s[16:17], -v[29:30]
	v_add_f64_e32 v[0:1], v[0:1], v[120:121]
	v_add_f64_e32 v[2:3], v[2:3], v[122:123]
	;; [unrolled: 1-line block ×10, first 2 shown]
	s_delay_alu instid0(VALU_DEP_2) | instskip(NEXT) | instid1(VALU_DEP_2)
	v_add_f64_e32 v[0:1], v[0:1], v[124:125]
	v_add_f64_e32 v[2:3], v[2:3], v[126:127]
	s_delay_alu instid0(VALU_DEP_2) | instskip(NEXT) | instid1(VALU_DEP_2)
	v_add_f64_e32 v[0:1], v[0:1], v[116:117]
	v_add_f64_e32 v[2:3], v[2:3], v[118:119]
	;; [unrolled: 3-line block ×3, first 2 shown]
	v_add_f64_e32 v[78:79], v[62:63], v[58:59]
	v_add_f64_e64 v[62:63], v[62:63], -v[58:59]
	v_add_f64_e32 v[76:77], v[60:61], v[56:57]
	v_add_f64_e64 v[60:61], v[60:61], -v[56:57]
	v_add_f64_e32 v[0:1], v[0:1], v[56:57]
	v_add_f64_e32 v[2:3], v[2:3], v[58:59]
	s_delay_alu instid0(VALU_DEP_2) | instskip(NEXT) | instid1(VALU_DEP_2)
	v_add_f64_e32 v[116:117], v[0:1], v[48:49]
	v_add_f64_e32 v[118:119], v[2:3], v[50:51]
	v_mul_f64_e32 v[0:1], s[26:27], v[5:6]
	v_mul_f64_e32 v[2:3], s[28:29], v[5:6]
	;; [unrolled: 1-line block ×3, first 2 shown]
	v_fma_f64 v[48:49], v[9:10], s[8:9], v[31:32]
	v_fma_f64 v[31:32], v[9:10], s[8:9], -v[31:32]
	v_fma_f64 v[17:18], v[7:8], s[0:1], -v[0:1]
	v_fma_f64 v[0:1], v[7:8], s[0:1], v[0:1]
	v_fma_f64 v[19:20], v[7:8], s[18:19], -v[2:3]
	v_fma_f64 v[2:3], v[7:8], s[18:19], v[2:3]
	;; [unrolled: 2-line block ×3, first 2 shown]
	v_mul_f64_e32 v[7:8], s[26:27], v[11:12]
	v_mul_f64_e32 v[11:12], s[24:25], v[11:12]
	v_add_f64_e32 v[31:32], v[46:47], v[31:32]
	v_add_f64_e32 v[0:1], v[44:45], v[0:1]
	;; [unrolled: 1-line block ×6, first 2 shown]
	v_fma_f64 v[33:34], v[9:10], s[0:1], v[7:8]
	v_fma_f64 v[7:8], v[9:10], s[0:1], -v[7:8]
	v_fma_f64 v[50:51], v[9:10], s[14:15], v[11:12]
	v_fma_f64 v[9:10], v[9:10], s[14:15], -v[11:12]
	v_add_f64_e32 v[11:12], v[44:45], v[17:18]
	v_add_f64_e32 v[17:18], v[46:47], v[33:34]
	;; [unrolled: 1-line block ×5, first 2 shown]
	v_mul_f64_e32 v[9:10], s[28:29], v[62:63]
	v_add_f64_e32 v[35:36], v[46:47], v[37:38]
	v_add_f64_e32 v[37:38], v[46:47], v[48:49]
	v_add_f64_e32 v[48:49], v[46:47], v[50:51]
	s_delay_alu instid0(VALU_DEP_4) | instskip(SKIP_1) | instid1(VALU_DEP_2)
	v_fma_f64 v[46:47], v[76:77], s[18:19], -v[9:10]
	v_fma_f64 v[9:10], v[76:77], s[18:19], v[9:10]
	v_add_f64_e32 v[11:12], v[46:47], v[11:12]
	v_mul_f64_e32 v[46:47], s[28:29], v[60:61]
	s_delay_alu instid0(VALU_DEP_3) | instskip(NEXT) | instid1(VALU_DEP_2)
	v_add_f64_e32 v[0:1], v[9:10], v[0:1]
	v_fma_f64 v[50:51], v[78:79], s[18:19], v[46:47]
	v_fma_f64 v[9:10], v[78:79], s[18:19], -v[46:47]
	s_delay_alu instid0(VALU_DEP_2) | instskip(SKIP_1) | instid1(VALU_DEP_3)
	v_add_f64_e32 v[17:18], v[50:51], v[17:18]
	v_mul_f64_e32 v[50:51], s[20:21], v[82:83]
	v_add_f64_e32 v[7:8], v[9:10], v[7:8]
	s_delay_alu instid0(VALU_DEP_2) | instskip(SKIP_1) | instid1(VALU_DEP_2)
	v_fma_f64 v[52:53], v[152:153], s[16:17], -v[50:51]
	v_fma_f64 v[9:10], v[152:153], s[16:17], v[50:51]
	v_add_f64_e32 v[11:12], v[52:53], v[11:12]
	v_mul_f64_e32 v[52:53], s[20:21], v[80:81]
	s_delay_alu instid0(VALU_DEP_3) | instskip(NEXT) | instid1(VALU_DEP_2)
	v_add_f64_e32 v[0:1], v[9:10], v[0:1]
	v_fma_f64 v[54:55], v[154:155], s[16:17], v[52:53]
	v_fma_f64 v[9:10], v[154:155], s[16:17], -v[52:53]
	s_delay_alu instid0(VALU_DEP_2) | instskip(SKIP_1) | instid1(VALU_DEP_3)
	v_add_f64_e32 v[17:18], v[54:55], v[17:18]
	v_mul_f64_e32 v[54:55], s[22:23], v[150:151]
	v_add_f64_e32 v[7:8], v[9:10], v[7:8]
	s_delay_alu instid0(VALU_DEP_2) | instskip(SKIP_1) | instid1(VALU_DEP_2)
	;; [unrolled: 13-line block ×3, first 2 shown]
	v_fma_f64 v[120:121], v[136:137], s[14:15], -v[58:59]
	v_fma_f64 v[9:10], v[136:137], s[14:15], v[58:59]
	v_add_f64_e32 v[124:125], v[120:121], v[11:12]
	v_mul_f64_e32 v[11:12], s[24:25], v[140:141]
	s_delay_alu instid0(VALU_DEP_1) | instskip(SKIP_1) | instid1(VALU_DEP_2)
	v_fma_f64 v[120:121], v[138:139], s[14:15], v[11:12]
	v_fma_f64 v[11:12], v[138:139], s[14:15], -v[11:12]
	v_add_f64_e32 v[126:127], v[120:121], v[17:18]
	v_add_f64_e32 v[120:121], v[9:10], v[0:1]
	v_mul_f64_e32 v[0:1], s[22:23], v[62:63]
	s_delay_alu instid0(VALU_DEP_4) | instskip(SKIP_2) | instid1(VALU_DEP_4)
	v_add_f64_e32 v[122:123], v[11:12], v[7:8]
	v_mul_f64_e32 v[17:18], s[36:37], v[82:83]
	v_mul_f64_e32 v[9:10], s[22:23], v[60:61]
	v_fma_f64 v[7:8], v[76:77], s[8:9], -v[0:1]
	v_fma_f64 v[0:1], v[76:77], s[8:9], v[0:1]
	s_delay_alu instid0(VALU_DEP_3) | instskip(NEXT) | instid1(VALU_DEP_3)
	v_fma_f64 v[11:12], v[78:79], s[8:9], v[9:10]
	v_add_f64_e32 v[7:8], v[7:8], v[19:20]
	v_fma_f64 v[19:20], v[152:153], s[14:15], -v[17:18]
	s_delay_alu instid0(VALU_DEP_4) | instskip(NEXT) | instid1(VALU_DEP_4)
	v_add_f64_e32 v[0:1], v[0:1], v[2:3]
	v_add_f64_e32 v[11:12], v[11:12], v[33:34]
	v_fma_f64 v[2:3], v[78:79], s[8:9], -v[9:10]
	v_fma_f64 v[9:10], v[152:153], s[14:15], v[17:18]
	v_mul_f64_e32 v[17:18], s[36:37], v[60:61]
	v_add_f64_e32 v[7:8], v[19:20], v[7:8]
	v_mul_f64_e32 v[19:20], s[36:37], v[80:81]
	v_add_f64_e32 v[2:3], v[2:3], v[27:28]
	v_add_f64_e32 v[0:1], v[9:10], v[0:1]
	v_mul_f64_e32 v[27:28], s[26:27], v[150:151]
	s_delay_alu instid0(VALU_DEP_4) | instskip(SKIP_2) | instid1(VALU_DEP_3)
	v_fma_f64 v[33:34], v[154:155], s[14:15], v[19:20]
	v_fma_f64 v[9:10], v[154:155], s[14:15], -v[19:20]
	v_mul_f64_e32 v[19:20], s[38:39], v[82:83]
	v_add_f64_e32 v[11:12], v[33:34], v[11:12]
	v_mul_f64_e32 v[33:34], s[34:35], v[150:151]
	s_delay_alu instid0(VALU_DEP_4) | instskip(NEXT) | instid1(VALU_DEP_2)
	v_add_f64_e32 v[2:3], v[9:10], v[2:3]
	v_fma_f64 v[46:47], v[144:145], s[16:17], -v[33:34]
	v_fma_f64 v[9:10], v[144:145], s[16:17], v[33:34]
	v_mul_f64_e32 v[33:34], s[26:27], v[148:149]
	s_delay_alu instid0(VALU_DEP_3) | instskip(SKIP_1) | instid1(VALU_DEP_4)
	v_add_f64_e32 v[7:8], v[46:47], v[7:8]
	v_mul_f64_e32 v[46:47], s[34:35], v[148:149]
	v_add_f64_e32 v[0:1], v[9:10], v[0:1]
	s_delay_alu instid0(VALU_DEP_2) | instskip(SKIP_1) | instid1(VALU_DEP_2)
	v_fma_f64 v[50:51], v[146:147], s[16:17], v[46:47]
	v_fma_f64 v[9:10], v[146:147], s[16:17], -v[46:47]
	v_add_f64_e32 v[11:12], v[50:51], v[11:12]
	v_mul_f64_e32 v[50:51], s[30:31], v[142:143]
	s_delay_alu instid0(VALU_DEP_3) | instskip(NEXT) | instid1(VALU_DEP_2)
	v_add_f64_e32 v[2:3], v[9:10], v[2:3]
	v_fma_f64 v[52:53], v[136:137], s[0:1], -v[50:51]
	v_fma_f64 v[9:10], v[136:137], s[0:1], v[50:51]
	s_delay_alu instid0(VALU_DEP_2) | instskip(SKIP_1) | instid1(VALU_DEP_3)
	v_add_f64_e32 v[128:129], v[52:53], v[7:8]
	v_mul_f64_e32 v[7:8], s[30:31], v[140:141]
	v_add_f64_e32 v[132:133], v[9:10], v[0:1]
	v_mul_f64_e32 v[0:1], s[36:37], v[62:63]
	v_fma_f64 v[9:10], v[152:153], s[18:19], -v[19:20]
	s_delay_alu instid0(VALU_DEP_4) | instskip(SKIP_1) | instid1(VALU_DEP_2)
	v_fma_f64 v[52:53], v[138:139], s[0:1], v[7:8]
	v_fma_f64 v[7:8], v[138:139], s[0:1], -v[7:8]
	v_add_f64_e32 v[130:131], v[52:53], v[11:12]
	s_delay_alu instid0(VALU_DEP_2) | instskip(SKIP_3) | instid1(VALU_DEP_3)
	v_add_f64_e32 v[134:135], v[7:8], v[2:3]
	v_fma_f64 v[2:3], v[76:77], s[14:15], -v[0:1]
	v_fma_f64 v[7:8], v[78:79], s[14:15], v[17:18]
	v_fma_f64 v[0:1], v[76:77], s[14:15], v[0:1]
	v_add_f64_e32 v[2:3], v[2:3], v[21:22]
	v_mul_f64_e32 v[21:22], s[38:39], v[80:81]
	s_delay_alu instid0(VALU_DEP_4) | instskip(NEXT) | instid1(VALU_DEP_4)
	v_add_f64_e32 v[7:8], v[7:8], v[35:36]
	v_add_f64_e32 v[0:1], v[0:1], v[13:14]
	v_fma_f64 v[12:13], v[78:79], s[14:15], -v[17:18]
	v_fma_f64 v[17:18], v[152:153], s[18:19], v[19:20]
	v_mul_f64_e32 v[35:36], s[22:23], v[142:143]
	v_mul_f64_e32 v[19:20], s[26:27], v[82:83]
	v_add_f64_e32 v[2:3], v[9:10], v[2:3]
	v_fma_f64 v[9:10], v[154:155], s[18:19], v[21:22]
	v_add_f64_e32 v[12:13], v[12:13], v[29:30]
	v_add_f64_e32 v[0:1], v[17:18], v[0:1]
	v_fma_f64 v[17:18], v[154:155], s[18:19], -v[21:22]
	v_fma_f64 v[21:22], v[152:153], s[0:1], -v[19:20]
	v_add_f64_e32 v[7:8], v[9:10], v[7:8]
	v_fma_f64 v[9:10], v[144:145], s[0:1], -v[27:28]
	s_delay_alu instid0(VALU_DEP_4) | instskip(SKIP_1) | instid1(VALU_DEP_3)
	v_add_f64_e32 v[12:13], v[17:18], v[12:13]
	v_fma_f64 v[17:18], v[144:145], s[0:1], v[27:28]
	v_add_f64_e32 v[2:3], v[9:10], v[2:3]
	v_fma_f64 v[9:10], v[146:147], s[0:1], v[33:34]
	s_delay_alu instid0(VALU_DEP_3) | instskip(SKIP_1) | instid1(VALU_DEP_3)
	v_add_f64_e32 v[0:1], v[17:18], v[0:1]
	v_fma_f64 v[17:18], v[146:147], s[0:1], -v[33:34]
	v_add_f64_e32 v[10:11], v[9:10], v[7:8]
	v_fma_f64 v[7:8], v[136:137], s[8:9], -v[35:36]
	s_delay_alu instid0(VALU_DEP_3) | instskip(SKIP_1) | instid1(VALU_DEP_3)
	v_add_f64_e32 v[12:13], v[17:18], v[12:13]
	v_fma_f64 v[17:18], v[136:137], s[8:9], v[35:36]
	v_add_f64_e32 v[8:9], v[7:8], v[2:3]
	v_mul_f64_e32 v[2:3], s[22:23], v[140:141]
	s_delay_alu instid0(VALU_DEP_3) | instskip(SKIP_1) | instid1(VALU_DEP_3)
	v_add_f64_e32 v[212:213], v[17:18], v[0:1]
	v_mul_f64_e32 v[0:1], s[34:35], v[62:63]
	v_fma_f64 v[46:47], v[138:139], s[8:9], v[2:3]
	v_fma_f64 v[2:3], v[138:139], s[8:9], -v[2:3]
	s_delay_alu instid0(VALU_DEP_2) | instskip(NEXT) | instid1(VALU_DEP_2)
	v_add_f64_e32 v[10:11], v[46:47], v[10:11]
	v_add_f64_e32 v[214:215], v[2:3], v[12:13]
	v_fma_f64 v[2:3], v[76:77], s[16:17], -v[0:1]
	v_mul_f64_e32 v[12:13], s[34:35], v[60:61]
	v_fma_f64 v[0:1], v[76:77], s[16:17], v[0:1]
	s_delay_alu instid0(VALU_DEP_3) | instskip(NEXT) | instid1(VALU_DEP_3)
	v_add_f64_e32 v[2:3], v[2:3], v[23:24]
	v_fma_f64 v[17:18], v[78:79], s[16:17], v[12:13]
	s_delay_alu instid0(VALU_DEP_3)
	v_add_f64_e32 v[0:1], v[0:1], v[15:16]
	v_fma_f64 v[12:13], v[78:79], s[16:17], -v[12:13]
	v_fma_f64 v[14:15], v[152:153], s[0:1], v[19:20]
	v_add_f64_e32 v[2:3], v[21:22], v[2:3]
	v_mul_f64_e32 v[21:22], s[26:27], v[80:81]
	v_add_f64_e32 v[17:18], v[17:18], v[37:38]
	v_add_f64_e32 v[12:13], v[12:13], v[31:32]
	v_add_f64_e32 v[0:1], v[14:15], v[0:1]
	s_delay_alu instid0(VALU_DEP_4) | instskip(SKIP_1) | instid1(VALU_DEP_2)
	v_fma_f64 v[23:24], v[154:155], s[0:1], v[21:22]
	v_fma_f64 v[14:15], v[154:155], s[0:1], -v[21:22]
	v_add_f64_e32 v[17:18], v[23:24], v[17:18]
	v_mul_f64_e32 v[23:24], s[24:25], v[150:151]
	s_delay_alu instid0(VALU_DEP_3) | instskip(NEXT) | instid1(VALU_DEP_2)
	v_add_f64_e32 v[12:13], v[14:15], v[12:13]
	v_fma_f64 v[27:28], v[144:145], s[14:15], -v[23:24]
	v_fma_f64 v[14:15], v[144:145], s[14:15], v[23:24]
	s_delay_alu instid0(VALU_DEP_2) | instskip(SKIP_1) | instid1(VALU_DEP_3)
	v_add_f64_e32 v[2:3], v[27:28], v[2:3]
	v_mul_f64_e32 v[27:28], s[24:25], v[148:149]
	v_add_f64_e32 v[0:1], v[14:15], v[0:1]
	s_delay_alu instid0(VALU_DEP_2) | instskip(SKIP_1) | instid1(VALU_DEP_2)
	v_fma_f64 v[29:30], v[146:147], s[14:15], v[27:28]
	v_fma_f64 v[14:15], v[146:147], s[14:15], -v[27:28]
	v_add_f64_e32 v[17:18], v[29:30], v[17:18]
	v_mul_f64_e32 v[29:30], s[38:39], v[142:143]
	s_delay_alu instid0(VALU_DEP_3) | instskip(NEXT) | instid1(VALU_DEP_2)
	v_add_f64_e32 v[12:13], v[14:15], v[12:13]
	v_fma_f64 v[33:34], v[136:137], s[18:19], -v[29:30]
	v_fma_f64 v[14:15], v[136:137], s[18:19], v[29:30]
	v_add_f64_e64 v[30:31], v[110:111], -v[102:103]
	s_delay_alu instid0(VALU_DEP_3) | instskip(SKIP_1) | instid1(VALU_DEP_4)
	v_add_f64_e32 v[216:217], v[33:34], v[2:3]
	v_mul_f64_e32 v[2:3], s[38:39], v[140:141]
	v_add_f64_e32 v[220:221], v[14:15], v[0:1]
	v_mul_f64_e32 v[0:1], s[30:31], v[62:63]
	v_mul_f64_e32 v[156:157], s[30:31], v[30:31]
	;; [unrolled: 1-line block ×3, first 2 shown]
	v_fma_f64 v[33:34], v[138:139], s[18:19], v[2:3]
	v_fma_f64 v[2:3], v[138:139], s[18:19], -v[2:3]
	s_delay_alu instid0(VALU_DEP_2) | instskip(NEXT) | instid1(VALU_DEP_2)
	v_add_f64_e32 v[218:219], v[33:34], v[17:18]
	v_add_f64_e32 v[222:223], v[2:3], v[12:13]
	v_fma_f64 v[2:3], v[76:77], s[0:1], -v[0:1]
	v_mul_f64_e32 v[16:17], s[22:23], v[82:83]
	v_mul_f64_e32 v[12:13], s[30:31], v[60:61]
	v_fma_f64 v[0:1], v[76:77], s[0:1], v[0:1]
	v_mul_f64_e32 v[82:83], s[38:39], v[30:31]
	v_add_f64_e32 v[2:3], v[2:3], v[25:26]
	v_fma_f64 v[18:19], v[152:153], s[8:9], -v[16:17]
	v_fma_f64 v[14:15], v[78:79], s[0:1], v[12:13]
	v_mul_f64_e32 v[26:27], s[20:21], v[140:141]
	v_add_f64_e32 v[0:1], v[0:1], v[5:6]
	s_delay_alu instid0(VALU_DEP_4) | instskip(SKIP_2) | instid1(VALU_DEP_2)
	v_add_f64_e32 v[2:3], v[18:19], v[2:3]
	v_mul_f64_e32 v[18:19], s[22:23], v[80:81]
	v_add_f64_e32 v[14:15], v[14:15], v[48:49]
	v_fma_f64 v[20:21], v[154:155], s[8:9], v[18:19]
	s_delay_alu instid0(VALU_DEP_1) | instskip(SKIP_1) | instid1(VALU_DEP_1)
	v_add_f64_e32 v[14:15], v[20:21], v[14:15]
	v_mul_f64_e32 v[20:21], s[38:39], v[150:151]
	v_fma_f64 v[22:23], v[144:145], s[18:19], -v[20:21]
	v_fma_f64 v[5:6], v[144:145], s[18:19], v[20:21]
	s_delay_alu instid0(VALU_DEP_2) | instskip(SKIP_2) | instid1(VALU_DEP_2)
	v_add_f64_e32 v[2:3], v[22:23], v[2:3]
	v_mul_f64_e32 v[22:23], s[38:39], v[148:149]
	v_add_f64_e32 v[148:149], v[110:111], v[102:103]
	v_fma_f64 v[24:25], v[146:147], s[18:19], v[22:23]
	s_delay_alu instid0(VALU_DEP_1) | instskip(SKIP_1) | instid1(VALU_DEP_1)
	v_add_f64_e32 v[14:15], v[24:25], v[14:15]
	v_mul_f64_e32 v[24:25], s[20:21], v[142:143]
	v_fma_f64 v[28:29], v[136:137], s[16:17], -v[24:25]
	s_delay_alu instid0(VALU_DEP_1) | instskip(SKIP_2) | instid1(VALU_DEP_2)
	v_add_f64_e32 v[224:225], v[28:29], v[2:3]
	v_fma_f64 v[2:3], v[138:139], s[16:17], v[26:27]
	v_add_f64_e64 v[28:29], v[112:113], -v[96:97]
	v_add_f64_e32 v[226:227], v[2:3], v[14:15]
	v_fma_f64 v[2:3], v[78:79], s[0:1], -v[12:13]
	v_fma_f64 v[12:13], v[152:153], s[8:9], v[16:17]
	v_fma_f64 v[14:15], v[154:155], s[8:9], -v[18:19]
	v_fma_f64 v[16:17], v[146:147], s[18:19], -v[22:23]
	v_add_f64_e32 v[154:155], v[112:113], v[96:97]
	v_add_f64_e32 v[146:147], v[108:109], v[100:101]
	v_mul_f64_e32 v[174:175], s[34:35], v[28:29]
	v_mul_f64_e32 v[196:197], s[26:27], v[28:29]
	;; [unrolled: 1-line block ×3, first 2 shown]
	v_add_f64_e32 v[2:3], v[2:3], v[44:45]
	v_add_f64_e32 v[0:1], v[12:13], v[0:1]
	v_fma_f64 v[12:13], v[136:137], s[16:17], v[24:25]
	v_add_f64_e64 v[24:25], v[114:115], -v[98:99]
	s_delay_alu instid0(VALU_DEP_4) | instskip(NEXT) | instid1(VALU_DEP_4)
	v_add_f64_e32 v[2:3], v[14:15], v[2:3]
	v_add_f64_e32 v[0:1], v[5:6], v[0:1]
	v_add_f64_e64 v[5:6], v[70:71], -v[90:91]
	v_fma_f64 v[14:15], v[138:139], s[16:17], -v[26:27]
	v_mul_f64_e32 v[138:139], s[22:23], v[28:29]
	v_mul_f64_e32 v[170:171], s[34:35], v[24:25]
	;; [unrolled: 1-line block ×5, first 2 shown]
	v_add_f64_e32 v[2:3], v[16:17], v[2:3]
	v_add_f64_e32 v[228:229], v[12:13], v[0:1]
	v_mul_f64_e32 v[150:151], s[26:27], v[5:6]
	v_add_f64_e64 v[12:13], v[94:95], -v[74:75]
	v_add_f64_e64 v[16:17], v[92:93], -v[72:73]
	v_mul_f64_e32 v[194:195], s[28:29], v[5:6]
	v_mul_f64_e32 v[208:209], s[20:21], v[5:6]
	v_add_f64_e32 v[230:231], v[14:15], v[2:3]
	v_add_f64_e64 v[14:15], v[68:69], -v[88:89]
	v_fma_f64 v[0:1], v[166:167], s[0:1], v[150:151]
	v_mul_f64_e32 v[142:143], s[28:29], v[12:13]
	v_mul_f64_e32 v[152:153], s[28:29], v[16:17]
	;; [unrolled: 1-line block ×9, first 2 shown]
	v_add_f64_e32 v[0:1], v[64:65], v[0:1]
	v_fma_f64 v[2:3], v[162:163], s[18:19], v[142:143]
	v_fma_f64 v[18:19], v[176:177], s[18:19], -v[152:153]
	v_mul_f64_e32 v[198:199], s[28:29], v[14:15]
	v_mul_f64_e32 v[210:211], s[20:21], v[14:15]
	v_fma_f64 v[56:57], v[176:177], s[16:17], v[60:61]
	v_add_f64_e32 v[0:1], v[2:3], v[0:1]
	v_fma_f64 v[2:3], v[178:179], s[0:1], -v[164:165]
	s_delay_alu instid0(VALU_DEP_1) | instskip(NEXT) | instid1(VALU_DEP_1)
	v_add_f64_e32 v[2:3], v[66:67], v[2:3]
	v_add_f64_e32 v[2:3], v[18:19], v[2:3]
	v_add_f64_e64 v[18:19], v[106:107], -v[86:87]
	s_delay_alu instid0(VALU_DEP_1)
	v_mul_f64_e32 v[140:141], s[20:21], v[18:19]
	v_mul_f64_e32 v[180:181], s[36:37], v[18:19]
	;; [unrolled: 1-line block ×5, first 2 shown]
	v_fma_f64 v[20:21], v[168:169], s[16:17], v[140:141]
	s_delay_alu instid0(VALU_DEP_1) | instskip(SKIP_1) | instid1(VALU_DEP_1)
	v_add_f64_e32 v[0:1], v[20:21], v[0:1]
	v_add_f64_e64 v[20:21], v[104:105], -v[84:85]
	v_mul_f64_e32 v[144:145], s[20:21], v[20:21]
	v_mul_f64_e32 v[182:183], s[36:37], v[20:21]
	v_mul_f64_e32 v[202:203], s[38:39], v[20:21]
	v_mul_f64_e32 v[76:77], s[26:27], v[20:21]
	v_mul_f64_e32 v[20:21], s[22:23], v[20:21]
	v_fma_f64 v[22:23], v[172:173], s[16:17], -v[144:145]
	s_delay_alu instid0(VALU_DEP_1) | instskip(SKIP_2) | instid1(VALU_DEP_2)
	v_add_f64_e32 v[22:23], v[22:23], v[2:3]
	v_mul_f64_e32 v[2:3], s[22:23], v[24:25]
	v_mul_f64_e32 v[24:25], s[38:39], v[24:25]
	v_fma_f64 v[26:27], v[154:155], s[8:9], v[2:3]
	s_delay_alu instid0(VALU_DEP_1) | instskip(SKIP_1) | instid1(VALU_DEP_1)
	v_add_f64_e32 v[26:27], v[26:27], v[0:1]
	v_fma_f64 v[0:1], v[158:159], s[8:9], -v[138:139]
	v_add_f64_e32 v[22:23], v[0:1], v[22:23]
	v_mul_f64_e32 v[0:1], s[24:25], v[30:31]
	v_mul_f64_e32 v[30:31], s[20:21], v[30:31]
	s_delay_alu instid0(VALU_DEP_2) | instskip(NEXT) | instid1(VALU_DEP_1)
	v_fma_f64 v[32:33], v[146:147], s[14:15], v[0:1]
	v_add_f64_e32 v[34:35], v[32:33], v[26:27]
	v_add_f64_e64 v[26:27], v[108:109], -v[100:101]
	s_delay_alu instid0(VALU_DEP_1) | instskip(SKIP_2) | instid1(VALU_DEP_3)
	v_mul_f64_e32 v[136:137], s[24:25], v[26:27]
	v_mul_f64_e32 v[160:161], s[30:31], v[26:27]
	;; [unrolled: 1-line block ×3, first 2 shown]
	v_fma_f64 v[32:33], v[148:149], s[14:15], -v[136:137]
	s_delay_alu instid0(VALU_DEP_1)
	v_add_f64_e32 v[36:37], v[32:33], v[22:23]
	v_fma_f64 v[22:23], v[166:167], s[18:19], v[194:195]
	v_fma_f64 v[32:33], v[162:163], s[8:9], v[186:187]
	scratch_store_b128 off, v[34:37], off offset:4 ; 16-byte Folded Spill
	v_add_f64_e32 v[22:23], v[64:65], v[22:23]
	v_fma_f64 v[34:35], v[176:177], s[8:9], -v[190:191]
	s_delay_alu instid0(VALU_DEP_2) | instskip(SKIP_1) | instid1(VALU_DEP_1)
	v_add_f64_e32 v[22:23], v[32:33], v[22:23]
	v_fma_f64 v[32:33], v[178:179], s[18:19], -v[198:199]
	v_add_f64_e32 v[32:33], v[66:67], v[32:33]
	s_delay_alu instid0(VALU_DEP_1) | instskip(SKIP_1) | instid1(VALU_DEP_1)
	v_add_f64_e32 v[32:33], v[34:35], v[32:33]
	v_fma_f64 v[34:35], v[168:169], s[14:15], v[180:181]
	v_add_f64_e32 v[22:23], v[34:35], v[22:23]
	v_fma_f64 v[34:35], v[172:173], s[14:15], -v[182:183]
	s_delay_alu instid0(VALU_DEP_1) | instskip(SKIP_1) | instid1(VALU_DEP_1)
	v_add_f64_e32 v[32:33], v[34:35], v[32:33]
	v_fma_f64 v[34:35], v[154:155], s[16:17], v[170:171]
	v_add_f64_e32 v[22:23], v[34:35], v[22:23]
	v_fma_f64 v[34:35], v[158:159], s[16:17], -v[174:175]
	;; [unrolled: 5-line block ×3, first 2 shown]
	s_delay_alu instid0(VALU_DEP_1)
	v_add_f64_e32 v[36:37], v[22:23], v[32:33]
	v_fma_f64 v[22:23], v[166:167], s[16:17], v[208:209]
	v_fma_f64 v[32:33], v[162:163], s[14:15], v[204:205]
	scratch_store_b128 off, v[34:37], off offset:20 ; 16-byte Folded Spill
	v_add_f64_e32 v[22:23], v[64:65], v[22:23]
	v_fma_f64 v[34:35], v[176:177], s[14:15], -v[206:207]
	s_delay_alu instid0(VALU_DEP_2) | instskip(SKIP_1) | instid1(VALU_DEP_1)
	v_add_f64_e32 v[22:23], v[32:33], v[22:23]
	v_fma_f64 v[32:33], v[178:179], s[16:17], -v[210:211]
	v_add_f64_e32 v[32:33], v[66:67], v[32:33]
	s_delay_alu instid0(VALU_DEP_1) | instskip(SKIP_1) | instid1(VALU_DEP_1)
	v_add_f64_e32 v[32:33], v[34:35], v[32:33]
	v_fma_f64 v[34:35], v[168:169], s[18:19], v[200:201]
	v_add_f64_e32 v[22:23], v[34:35], v[22:23]
	v_fma_f64 v[34:35], v[172:173], s[18:19], -v[202:203]
	s_delay_alu instid0(VALU_DEP_1) | instskip(SKIP_1) | instid1(VALU_DEP_1)
	v_add_f64_e32 v[32:33], v[34:35], v[32:33]
	v_fma_f64 v[34:35], v[154:155], s[0:1], v[192:193]
	v_add_f64_e32 v[22:23], v[34:35], v[22:23]
	v_fma_f64 v[34:35], v[158:159], s[0:1], -v[196:197]
	;; [unrolled: 5-line block ×3, first 2 shown]
	s_delay_alu instid0(VALU_DEP_1)
	v_add_f64_e32 v[36:37], v[22:23], v[32:33]
	v_mul_f64_e32 v[22:23], s[22:23], v[5:6]
	v_mul_f64_e32 v[5:6], s[24:25], v[5:6]
	scratch_store_b128 off, v[34:37], off offset:36 ; 16-byte Folded Spill
	v_fma_f64 v[32:33], v[166:167], s[8:9], -v[22:23]
	v_mul_f64_e32 v[34:35], s[34:35], v[12:13]
	v_fma_f64 v[22:23], v[166:167], s[8:9], v[22:23]
	v_mul_f64_e32 v[12:13], s[30:31], v[12:13]
	s_delay_alu instid0(VALU_DEP_4) | instskip(NEXT) | instid1(VALU_DEP_4)
	v_add_f64_e32 v[32:33], v[64:65], v[32:33]
	v_fma_f64 v[36:37], v[162:163], s[16:17], -v[34:35]
	s_delay_alu instid0(VALU_DEP_4) | instskip(SKIP_1) | instid1(VALU_DEP_3)
	v_add_f64_e32 v[22:23], v[64:65], v[22:23]
	v_fma_f64 v[34:35], v[162:163], s[16:17], v[34:35]
	v_add_f64_e32 v[32:33], v[36:37], v[32:33]
	v_mul_f64_e32 v[36:37], s[22:23], v[14:15]
	s_delay_alu instid0(VALU_DEP_3) | instskip(SKIP_1) | instid1(VALU_DEP_3)
	v_add_f64_e32 v[22:23], v[34:35], v[22:23]
	v_mul_f64_e32 v[14:15], s[24:25], v[14:15]
	v_fma_f64 v[38:39], v[178:179], s[8:9], v[36:37]
	v_fma_f64 v[34:35], v[178:179], s[8:9], -v[36:37]
	v_fma_f64 v[36:37], v[176:177], s[16:17], -v[60:61]
	s_delay_alu instid0(VALU_DEP_3) | instskip(NEXT) | instid1(VALU_DEP_3)
	v_add_f64_e32 v[38:39], v[66:67], v[38:39]
	v_add_f64_e32 v[34:35], v[66:67], v[34:35]
	s_delay_alu instid0(VALU_DEP_2) | instskip(SKIP_1) | instid1(VALU_DEP_3)
	v_add_f64_e32 v[38:39], v[56:57], v[38:39]
	v_fma_f64 v[56:57], v[168:169], s[0:1], -v[62:63]
	v_add_f64_e32 v[34:35], v[36:37], v[34:35]
	v_fma_f64 v[36:37], v[168:169], s[0:1], v[62:63]
	s_delay_alu instid0(VALU_DEP_3) | instskip(SKIP_1) | instid1(VALU_DEP_3)
	v_add_f64_e32 v[32:33], v[56:57], v[32:33]
	v_fma_f64 v[56:57], v[172:173], s[0:1], v[76:77]
	v_add_f64_e32 v[22:23], v[36:37], v[22:23]
	v_fma_f64 v[36:37], v[172:173], s[0:1], -v[76:77]
	s_delay_alu instid0(VALU_DEP_3) | instskip(SKIP_1) | instid1(VALU_DEP_3)
	v_add_f64_e32 v[38:39], v[56:57], v[38:39]
	v_fma_f64 v[56:57], v[154:155], s[14:15], -v[78:79]
	v_add_f64_e32 v[34:35], v[36:37], v[34:35]
	v_fma_f64 v[36:37], v[154:155], s[14:15], v[78:79]
	s_delay_alu instid0(VALU_DEP_3) | instskip(SKIP_1) | instid1(VALU_DEP_3)
	v_add_f64_e32 v[32:33], v[56:57], v[32:33]
	v_fma_f64 v[56:57], v[158:159], s[14:15], v[80:81]
	v_add_f64_e32 v[22:23], v[36:37], v[22:23]
	v_fma_f64 v[36:37], v[158:159], s[14:15], -v[80:81]
	s_delay_alu instid0(VALU_DEP_3) | instskip(SKIP_1) | instid1(VALU_DEP_3)
	v_add_f64_e32 v[38:39], v[56:57], v[38:39]
	v_fma_f64 v[56:57], v[146:147], s[18:19], -v[82:83]
	v_add_f64_e32 v[34:35], v[36:37], v[34:35]
	v_fma_f64 v[36:37], v[146:147], s[18:19], v[82:83]
	s_delay_alu instid0(VALU_DEP_3) | instskip(SKIP_1) | instid1(VALU_DEP_3)
	v_add_f64_e32 v[40:41], v[56:57], v[32:33]
	v_mul_f64_e32 v[32:33], s[38:39], v[26:27]
	v_add_f64_e32 v[36:37], v[36:37], v[22:23]
	v_fma_f64 v[22:23], v[166:167], s[14:15], -v[5:6]
	v_fma_f64 v[5:6], v[166:167], s[14:15], v[5:6]
	v_mul_f64_e32 v[26:27], s[20:21], v[26:27]
	v_fma_f64 v[58:59], v[148:149], s[18:19], v[32:33]
	v_fma_f64 v[32:33], v[148:149], s[18:19], -v[32:33]
	v_add_f64_e32 v[22:23], v[64:65], v[22:23]
	v_add_f64_e32 v[5:6], v[64:65], v[5:6]
	s_delay_alu instid0(VALU_DEP_4) | instskip(NEXT) | instid1(VALU_DEP_4)
	v_add_f64_e32 v[42:43], v[58:59], v[38:39]
	v_add_f64_e32 v[38:39], v[32:33], v[34:35]
	v_fma_f64 v[32:33], v[162:163], s[0:1], -v[12:13]
	v_fma_f64 v[12:13], v[162:163], s[0:1], v[12:13]
	v_fma_f64 v[34:35], v[176:177], s[0:1], v[16:17]
	s_clause 0x1
	scratch_store_b128 off, v[40:43], off offset:52
	scratch_store_b128 off, v[36:39], off offset:68
	v_add_f64_e32 v[22:23], v[32:33], v[22:23]
	v_add_f64_e32 v[5:6], v[12:13], v[5:6]
	v_fma_f64 v[12:13], v[178:179], s[14:15], -v[14:15]
	v_fma_f64 v[32:33], v[178:179], s[14:15], v[14:15]
	v_fma_f64 v[14:15], v[176:177], s[0:1], -v[16:17]
	v_fma_f64 v[16:17], v[148:149], s[16:17], -v[26:27]
	s_delay_alu instid0(VALU_DEP_4) | instskip(NEXT) | instid1(VALU_DEP_4)
	v_add_f64_e32 v[12:13], v[66:67], v[12:13]
	v_add_f64_e32 v[32:33], v[66:67], v[32:33]
	s_delay_alu instid0(VALU_DEP_2) | instskip(SKIP_1) | instid1(VALU_DEP_3)
	v_add_f64_e32 v[12:13], v[14:15], v[12:13]
	v_fma_f64 v[14:15], v[168:169], s[8:9], v[18:19]
	v_add_f64_e32 v[32:33], v[34:35], v[32:33]
	v_fma_f64 v[34:35], v[168:169], s[8:9], -v[18:19]
	s_delay_alu instid0(VALU_DEP_3) | instskip(SKIP_1) | instid1(VALU_DEP_3)
	v_add_f64_e32 v[5:6], v[14:15], v[5:6]
	v_fma_f64 v[14:15], v[172:173], s[8:9], -v[20:21]
	v_add_f64_e32 v[22:23], v[34:35], v[22:23]
	v_fma_f64 v[34:35], v[172:173], s[8:9], v[20:21]
	s_delay_alu instid0(VALU_DEP_3) | instskip(SKIP_1) | instid1(VALU_DEP_3)
	v_add_f64_e32 v[12:13], v[14:15], v[12:13]
	v_fma_f64 v[14:15], v[154:155], s[18:19], v[24:25]
	v_add_f64_e32 v[32:33], v[34:35], v[32:33]
	v_fma_f64 v[34:35], v[154:155], s[18:19], -v[24:25]
	s_delay_alu instid0(VALU_DEP_3) | instskip(SKIP_1) | instid1(VALU_DEP_3)
	v_add_f64_e32 v[5:6], v[14:15], v[5:6]
	v_fma_f64 v[14:15], v[158:159], s[18:19], -v[28:29]
	v_add_f64_e32 v[22:23], v[34:35], v[22:23]
	v_fma_f64 v[34:35], v[158:159], s[18:19], v[28:29]
	s_delay_alu instid0(VALU_DEP_3) | instskip(SKIP_1) | instid1(VALU_DEP_3)
	v_add_f64_e32 v[12:13], v[14:15], v[12:13]
	v_fma_f64 v[14:15], v[146:147], s[16:17], v[30:31]
	v_add_f64_e32 v[32:33], v[34:35], v[32:33]
	v_fma_f64 v[34:35], v[146:147], s[16:17], -v[30:31]
	s_delay_alu instid0(VALU_DEP_4) | instskip(NEXT) | instid1(VALU_DEP_4)
	v_add_f64_e32 v[16:17], v[16:17], v[12:13]
	v_add_f64_e32 v[14:15], v[14:15], v[5:6]
	scratch_load_b32 v6, off, off           ; 4-byte Folded Reload
	v_add_f64_e32 v[80:81], v[34:35], v[22:23]
	v_fma_f64 v[22:23], v[148:149], s[16:17], v[26:27]
	scratch_store_b128 off, v[14:17], off offset:84 ; 16-byte Folded Spill
	global_wb scope:SCOPE_SE
	s_wait_loadcnt 0x0
	s_wait_storecnt 0x0
	s_wait_kmcnt 0x0
	s_barrier_signal -1
	v_add_f64_e32 v[82:83], v[22:23], v[32:33]
	s_barrier_wait -1
	global_inv scope:SCOPE_SE
	v_mul_lo_u16 v5, v6, 11
	s_delay_alu instid0(VALU_DEP_1) | instskip(NEXT) | instid1(VALU_DEP_1)
	v_and_b32_e32 v5, 0xffff, v5
	v_lshlrev_b32_e32 v7, 4, v5
	ds_store_b128 v7, v[116:119]
	ds_store_b128 v7, v[124:127] offset:16
	ds_store_b128 v7, v[128:131] offset:32
	;; [unrolled: 1-line block ×10, first 2 shown]
	v_add_co_u32 v10, s20, v6, 55
	s_wait_alu 0xf1ff
	v_add_co_ci_u32_e64 v5, null, 0, 0, s20
	s_delay_alu instid0(VALU_DEP_2)
	v_mul_u32_u24_e32 v5, 11, v10
	scratch_store_b32 off, v5, off offset:300 ; 4-byte Folded Spill
	s_and_saveexec_b32 s20, vcc_lo
	s_cbranch_execz .LBB0_7
; %bb.6:
	v_add_f64_e32 v[5:6], v[66:67], v[70:71]
	v_add_f64_e32 v[8:9], v[64:65], v[68:69]
	v_mul_f64_e32 v[11:12], s[16:17], v[178:179]
	v_mul_f64_e32 v[13:14], s[16:17], v[166:167]
	;; [unrolled: 1-line block ×16, first 2 shown]
	v_add_f64_e32 v[5:6], v[5:6], v[94:95]
	v_add_f64_e32 v[8:9], v[8:9], v[92:93]
	;; [unrolled: 1-line block ×3, first 2 shown]
	v_add_f64_e64 v[13:14], v[13:14], -v[208:209]
	v_add_f64_e32 v[15:16], v[198:199], v[15:16]
	v_add_f64_e64 v[17:18], v[17:18], -v[194:195]
	v_add_f64_e32 v[19:20], v[164:165], v[19:20]
	v_add_f64_e64 v[21:22], v[21:22], -v[150:151]
	v_mul_f64_e32 v[92:93], s[18:19], v[168:169]
	v_mul_f64_e32 v[94:95], s[18:19], v[172:173]
	v_add_f64_e32 v[23:24], v[206:207], v[23:24]
	v_add_f64_e64 v[25:26], v[25:26], -v[204:205]
	v_add_f64_e32 v[27:28], v[190:191], v[27:28]
	v_add_f64_e64 v[29:30], v[29:30], -v[186:187]
	;; [unrolled: 2-line block ×5, first 2 shown]
	v_add_f64_e32 v[5:6], v[5:6], v[106:107]
	v_add_f64_e32 v[8:9], v[8:9], v[104:105]
	;; [unrolled: 1-line block ×8, first 2 shown]
	v_mul_f64_e32 v[104:105], s[0:1], v[154:155]
	v_mul_f64_e32 v[106:107], s[0:1], v[158:159]
	v_add_f64_e32 v[94:95], v[202:203], v[94:95]
	v_add_f64_e64 v[92:93], v[92:93], -v[200:201]
	v_mul_f64_e32 v[64:65], s[8:9], v[154:155]
	v_mul_f64_e32 v[66:67], s[8:9], v[158:159]
	v_add_f64_e32 v[5:6], v[5:6], v[114:115]
	v_add_f64_e32 v[8:9], v[8:9], v[112:113]
	v_add_f64_e32 v[11:12], v[23:24], v[11:12]
	v_add_f64_e32 v[13:14], v[25:26], v[13:14]
	v_add_f64_e32 v[15:16], v[27:28], v[15:16]
	v_add_f64_e32 v[17:18], v[29:30], v[17:18]
	v_add_f64_e32 v[19:20], v[31:32], v[19:20]
	v_add_f64_e32 v[21:22], v[33:34], v[21:22]
	v_mul_f64_e32 v[23:24], s[14:15], v[146:147]
	v_mul_f64_e32 v[29:30], s[0:1], v[148:149]
	;; [unrolled: 1-line block ×4, first 2 shown]
	v_add_f64_e64 v[2:3], v[64:65], -v[2:3]
	v_add_f64_e32 v[66:67], v[138:139], v[66:67]
	v_mul_f64_e32 v[27:28], s[0:1], v[146:147]
	v_mul_f64_e32 v[25:26], s[14:15], v[148:149]
	v_add_f64_e32 v[5:6], v[5:6], v[110:111]
	v_add_f64_e32 v[8:9], v[8:9], v[108:109]
	;; [unrolled: 1-line block ×8, first 2 shown]
	v_add_f64_e64 v[23:24], v[23:24], -v[0:1]
	v_add_f64_e32 v[29:30], v[160:161], v[29:30]
	v_add_f64_e64 v[31:32], v[31:32], -v[184:185]
	v_add_f64_e32 v[33:34], v[188:189], v[33:34]
	;; [unrolled: 2-line block ×3, first 2 shown]
	v_add_f64_e32 v[5:6], v[5:6], v[102:103]
	v_add_f64_e32 v[8:9], v[8:9], v[100:101]
	v_mul_f64_e32 v[102:103], s[16:17], v[158:159]
	v_mul_f64_e32 v[100:101], s[16:17], v[154:155]
	s_delay_alu instid0(VALU_DEP_4) | instskip(NEXT) | instid1(VALU_DEP_4)
	v_add_f64_e32 v[5:6], v[5:6], v[98:99]
	v_add_f64_e32 v[8:9], v[8:9], v[96:97]
	;; [unrolled: 1-line block ×3, first 2 shown]
	v_add_f64_e64 v[98:99], v[104:105], -v[192:193]
	v_add_f64_e32 v[102:103], v[174:175], v[102:103]
	v_add_f64_e64 v[100:101], v[100:101], -v[170:171]
	v_add_f64_e32 v[5:6], v[5:6], v[86:87]
	v_add_f64_e32 v[8:9], v[8:9], v[84:85]
	v_add_f64_e32 v[0:1], v[96:97], v[11:12]
	v_add_f64_e32 v[11:12], v[98:99], v[13:14]
	v_add_f64_e32 v[13:14], v[102:103], v[15:16]
	v_add_f64_e32 v[15:16], v[100:101], v[17:18]
	v_add_f64_e32 v[17:18], v[66:67], v[19:20]
	v_add_f64_e32 v[19:20], v[2:3], v[21:22]
	v_add_f64_e32 v[5:6], v[5:6], v[74:75]
	v_add_f64_e32 v[8:9], v[8:9], v[72:73]
	v_add_f64_e32 v[2:3], v[33:34], v[0:1]
	v_add_f64_e32 v[0:1], v[31:32], v[11:12]
	v_add_f64_e32 v[66:67], v[29:30], v[13:14]
	scratch_load_b128 v[11:14], off, off offset:52 ; 16-byte Folded Reload
	v_add_f64_e32 v[64:65], v[27:28], v[15:16]
	v_add_f64_e32 v[70:71], v[25:26], v[17:18]
	;; [unrolled: 1-line block ×4, first 2 shown]
	v_mul_u32_u24_e32 v5, 11, v10
	v_add_f64_e32 v[72:73], v[8:9], v[88:89]
	s_delay_alu instid0(VALU_DEP_2)
	v_lshlrev_b32_e32 v5, 4, v5
	s_wait_loadcnt 0x0
	ds_store_b128 v5, v[11:14] offset:64
	ds_store_b128 v5, v[80:83] offset:80
	scratch_load_b128 v[11:14], off, off offset:84 ; 16-byte Folded Reload
	s_wait_loadcnt 0x0
	ds_store_b128 v5, v[11:14] offset:96
	scratch_load_b128 v[11:14], off, off offset:68 ; 16-byte Folded Reload
	s_wait_loadcnt 0x0
	ds_store_b128 v5, v[11:14] offset:112
	scratch_load_b128 v[11:14], off, off offset:36 ; 16-byte Folded Reload
	s_wait_loadcnt 0x0
	ds_store_b128 v5, v[11:14] offset:128
	scratch_load_b128 v[11:14], off, off offset:20 ; 16-byte Folded Reload
	s_wait_loadcnt 0x0
	ds_store_b128 v5, v[11:14] offset:144
	ds_store_b128 v5, v[64:67] offset:32
	ds_store_b128 v5, v[0:3] offset:48
	ds_store_b128 v5, v[72:75]
	ds_store_b128 v5, v[68:71] offset:16
	scratch_load_b128 v[0:3], off, off offset:4 ; 16-byte Folded Reload
	s_wait_loadcnt 0x0
	ds_store_b128 v5, v[0:3] offset:160
.LBB0_7:
	s_wait_alu 0xfffe
	s_or_b32 exec_lo, exec_lo, s20
	scratch_load_b32 v44, off, off          ; 4-byte Folded Reload
	global_wb scope:SCOPE_SE
	s_wait_storecnt 0x0
	s_wait_loadcnt_dscnt 0x0
	s_barrier_signal -1
	s_barrier_wait -1
	global_inv scope:SCOPE_SE
	s_mov_b32 s14, 0x134454ff
	s_mov_b32 s15, 0x3fee6f0e
	;; [unrolled: 1-line block ×3, first 2 shown]
	s_wait_alu 0xfffe
	s_mov_b32 s16, s14
	s_mov_b32 s0, 0x4755a5e
	;; [unrolled: 1-line block ×4, first 2 shown]
	s_wait_alu 0xfffe
	s_mov_b32 s8, s0
	s_mov_b32 s18, 0x372fe950
	;; [unrolled: 1-line block ×3, first 2 shown]
	v_and_b32_e32 v0, 0xff, v44
	s_delay_alu instid0(VALU_DEP_1) | instskip(NEXT) | instid1(VALU_DEP_1)
	v_mul_lo_u16 v0, 0x75, v0
	v_lshrrev_b16 v0, 8, v0
	s_delay_alu instid0(VALU_DEP_1) | instskip(NEXT) | instid1(VALU_DEP_1)
	v_sub_nc_u16 v1, v44, v0
	v_lshrrev_b16 v1, 1, v1
	s_delay_alu instid0(VALU_DEP_1) | instskip(NEXT) | instid1(VALU_DEP_1)
	v_and_b32_e32 v1, 0x7f, v1
	v_add_nc_u16 v0, v1, v0
	s_delay_alu instid0(VALU_DEP_1) | instskip(NEXT) | instid1(VALU_DEP_1)
	v_lshrrev_b16 v1, 3, v0
	v_mul_lo_u16 v0, v1, 11
	v_and_b32_e32 v1, 0xffff, v1
	s_delay_alu instid0(VALU_DEP_2) | instskip(NEXT) | instid1(VALU_DEP_2)
	v_sub_nc_u16 v0, v44, v0
	v_mul_u32_u24_e32 v1, 55, v1
	s_delay_alu instid0(VALU_DEP_2) | instskip(NEXT) | instid1(VALU_DEP_1)
	v_and_b32_e32 v2, 0xff, v0
	v_lshlrev_b32_e32 v0, 6, v2
	s_delay_alu instid0(VALU_DEP_3)
	v_add_lshl_u32 v1, v1, v2, 4
	s_clause 0x3
	global_load_b128 v[72:75], v0, s[2:3]
	global_load_b128 v[68:71], v0, s[2:3] offset:16
	global_load_b128 v[64:67], v0, s[2:3] offset:48
	;; [unrolled: 1-line block ×3, first 2 shown]
	ds_load_b128 v[88:91], v4 offset:2640
	ds_load_b128 v[92:95], v4 offset:1760
	v_and_b32_e32 v0, 0xff, v10
	ds_load_b128 v[96:99], v4 offset:5280
	ds_load_b128 v[104:107], v4 offset:6160
	v_mul_lo_u16 v0, 0x75, v0
	s_delay_alu instid0(VALU_DEP_1) | instskip(NEXT) | instid1(VALU_DEP_1)
	v_lshrrev_b16 v0, 8, v0
	v_sub_nc_u16 v3, v10, v0
	s_delay_alu instid0(VALU_DEP_1) | instskip(NEXT) | instid1(VALU_DEP_1)
	v_lshrrev_b16 v3, 1, v3
	v_and_b32_e32 v3, 0x7f, v3
	s_delay_alu instid0(VALU_DEP_1) | instskip(NEXT) | instid1(VALU_DEP_1)
	v_add_nc_u16 v0, v3, v0
	v_lshrrev_b16 v39, 3, v0
	s_delay_alu instid0(VALU_DEP_1) | instskip(NEXT) | instid1(VALU_DEP_1)
	v_mul_lo_u16 v0, v39, 11
	v_sub_nc_u16 v0, v10, v0
	s_delay_alu instid0(VALU_DEP_1) | instskip(NEXT) | instid1(VALU_DEP_1)
	v_and_b32_e32 v40, 0xff, v0
	v_lshlrev_b32_e32 v0, 6, v40
	s_wait_loadcnt_dscnt 0x303
	v_mul_f64_e32 v[5:6], v[90:91], v[74:75]
	v_mul_f64_e32 v[8:9], v[88:89], v[74:75]
	s_wait_loadcnt_dscnt 0x201
	v_mul_f64_e32 v[11:12], v[98:99], v[70:71]
	v_mul_f64_e32 v[13:14], v[96:97], v[70:71]
	s_delay_alu instid0(VALU_DEP_4) | instskip(NEXT) | instid1(VALU_DEP_4)
	v_fma_f64 v[5:6], v[88:89], v[72:73], -v[5:6]
	v_fma_f64 v[8:9], v[90:91], v[72:73], v[8:9]
	ds_load_b128 v[88:91], v4 offset:10560
	ds_load_b128 v[112:115], v4 offset:11440
	v_fma_f64 v[11:12], v[96:97], v[68:69], -v[11:12]
	v_fma_f64 v[13:14], v[98:99], v[68:69], v[13:14]
	s_wait_loadcnt_dscnt 0x101
	v_mul_f64_e32 v[15:16], v[90:91], v[66:67]
	v_mul_f64_e32 v[17:18], v[88:89], v[66:67]
	s_delay_alu instid0(VALU_DEP_2) | instskip(NEXT) | instid1(VALU_DEP_2)
	v_fma_f64 v[15:16], v[88:89], v[64:65], -v[15:16]
	v_fma_f64 v[17:18], v[90:91], v[64:65], v[17:18]
	ds_load_b128 v[88:91], v4 offset:7920
	ds_load_b128 v[120:123], v4 offset:7040
	s_clause 0x1
	global_load_b128 v[100:103], v0, s[2:3]
	global_load_b128 v[96:99], v0, s[2:3] offset:16
	s_wait_loadcnt_dscnt 0x201
	v_mul_f64_e32 v[19:20], v[90:91], v[86:87]
	v_mul_f64_e32 v[21:22], v[88:89], v[86:87]
	v_add_f64_e64 v[148:149], v[5:6], -v[15:16]
	v_add_f64_e64 v[144:145], v[8:9], -v[17:18]
	s_delay_alu instid0(VALU_DEP_4) | instskip(NEXT) | instid1(VALU_DEP_4)
	v_fma_f64 v[19:20], v[88:89], v[84:85], -v[19:20]
	v_fma_f64 v[21:22], v[90:91], v[84:85], v[21:22]
	ds_load_b128 v[88:91], v4 offset:3520
	ds_load_b128 v[124:127], v4 offset:4400
	v_add_f64_e32 v[132:133], v[11:12], v[19:20]
	v_add_f64_e64 v[146:147], v[13:14], -v[21:22]
	v_add_f64_e64 v[150:151], v[11:12], -v[19:20]
	s_wait_loadcnt_dscnt 0x101
	v_mul_f64_e32 v[23:24], v[90:91], v[102:103]
	s_wait_loadcnt 0x0
	v_mul_f64_e32 v[27:28], v[106:107], v[98:99]
	v_mul_f64_e32 v[29:30], v[104:105], v[98:99]
	;; [unrolled: 1-line block ×3, first 2 shown]
	s_delay_alu instid0(VALU_DEP_4) | instskip(NEXT) | instid1(VALU_DEP_4)
	v_fma_f64 v[23:24], v[88:89], v[100:101], -v[23:24]
	v_fma_f64 v[27:28], v[104:105], v[96:97], -v[27:28]
	s_delay_alu instid0(VALU_DEP_4)
	v_fma_f64 v[29:30], v[106:107], v[96:97], v[29:30]
	s_clause 0x1
	global_load_b128 v[108:111], v0, s[2:3] offset:32
	global_load_b128 v[104:107], v0, s[2:3] offset:48
	v_add_co_u32 v0, null, 0x6e, v44
	v_fma_f64 v[25:26], v[90:91], v[100:101], v[25:26]
	ds_load_b128 v[88:91], v4 offset:8800
	ds_load_b128 v[128:131], v4 offset:9680
	v_and_b32_e32 v3, 0xff, v0
	s_delay_alu instid0(VALU_DEP_1) | instskip(SKIP_1) | instid1(VALU_DEP_2)
	v_mul_lo_u16 v41, 0x75, v3
	v_mul_lo_u16 v2, 0x95, v3
	v_lshrrev_b16 v41, 8, v41
	s_delay_alu instid0(VALU_DEP_2) | instskip(NEXT) | instid1(VALU_DEP_2)
	v_lshrrev_b16 v2, 13, v2
	v_sub_nc_u16 v42, v0, v41
	s_delay_alu instid0(VALU_DEP_2) | instskip(NEXT) | instid1(VALU_DEP_2)
	v_mul_lo_u16 v2, v2, 55
	v_lshrrev_b16 v42, 1, v42
	s_delay_alu instid0(VALU_DEP_2) | instskip(NEXT) | instid1(VALU_DEP_2)
	v_sub_nc_u16 v2, v0, v2
	v_and_b32_e32 v42, 0x7f, v42
	s_delay_alu instid0(VALU_DEP_1) | instskip(NEXT) | instid1(VALU_DEP_1)
	v_add_nc_u16 v41, v42, v41
	v_lshrrev_b16 v41, 3, v41
	s_delay_alu instid0(VALU_DEP_1) | instskip(NEXT) | instid1(VALU_DEP_1)
	v_mul_lo_u16 v42, v41, 11
	v_sub_nc_u16 v42, v0, v42
	v_lshlrev_b32_e32 v0, 5, v0
	s_delay_alu instid0(VALU_DEP_2) | instskip(NEXT) | instid1(VALU_DEP_1)
	v_and_b32_e32 v42, 0xff, v42
	v_lshlrev_b32_e32 v43, 6, v42
	s_wait_loadcnt_dscnt 0x101
	v_mul_f64_e32 v[31:32], v[90:91], v[110:111]
	s_wait_loadcnt 0x0
	v_mul_f64_e32 v[35:36], v[114:115], v[106:107]
	v_mul_f64_e32 v[37:38], v[112:113], v[106:107]
	;; [unrolled: 1-line block ×3, first 2 shown]
	s_delay_alu instid0(VALU_DEP_4) | instskip(NEXT) | instid1(VALU_DEP_4)
	v_fma_f64 v[31:32], v[88:89], v[108:109], -v[31:32]
	v_fma_f64 v[35:36], v[112:113], v[104:105], -v[35:36]
	s_delay_alu instid0(VALU_DEP_4)
	v_fma_f64 v[37:38], v[114:115], v[104:105], v[37:38]
	s_clause 0x1
	global_load_b128 v[116:119], v43, s[2:3]
	global_load_b128 v[112:115], v43, s[2:3] offset:16
	v_fma_f64 v[33:34], v[90:91], v[108:109], v[33:34]
	v_add_f64_e64 v[156:157], v[27:28], -v[31:32]
	s_wait_loadcnt 0x1
	v_mul_f64_e32 v[88:89], v[126:127], v[118:119]
	s_delay_alu instid0(VALU_DEP_1) | instskip(SKIP_1) | instid1(VALU_DEP_1)
	v_fma_f64 v[172:173], v[124:125], v[116:117], -v[88:89]
	v_mul_f64_e32 v[88:89], v[124:125], v[118:119]
	v_fma_f64 v[174:175], v[126:127], v[116:117], v[88:89]
	s_wait_loadcnt 0x0
	v_mul_f64_e32 v[88:89], v[122:123], v[114:115]
	s_delay_alu instid0(VALU_DEP_1) | instskip(SKIP_1) | instid1(VALU_DEP_1)
	v_fma_f64 v[176:177], v[120:121], v[112:113], -v[88:89]
	v_mul_f64_e32 v[88:89], v[120:121], v[114:115]
	v_fma_f64 v[178:179], v[122:123], v[112:113], v[88:89]
	s_clause 0x1
	global_load_b128 v[124:127], v43, s[2:3] offset:32
	global_load_b128 v[120:123], v43, s[2:3] offset:48
	s_wait_loadcnt_dscnt 0x100
	v_mul_f64_e32 v[88:89], v[130:131], v[126:127]
	s_delay_alu instid0(VALU_DEP_1) | instskip(SKIP_1) | instid1(VALU_DEP_1)
	v_fma_f64 v[180:181], v[128:129], v[124:125], -v[88:89]
	v_mul_f64_e32 v[88:89], v[128:129], v[126:127]
	v_fma_f64 v[182:183], v[130:131], v[124:125], v[88:89]
	ds_load_b128 v[88:91], v4 offset:12320
	s_wait_loadcnt_dscnt 0x0
	v_mul_f64_e32 v[128:129], v[90:91], v[122:123]
	s_delay_alu instid0(VALU_DEP_1) | instskip(SKIP_1) | instid1(VALU_DEP_1)
	v_fma_f64 v[184:185], v[88:89], v[120:121], -v[128:129]
	v_mul_f64_e32 v[88:89], v[88:89], v[122:123]
	v_fma_f64 v[186:187], v[90:91], v[120:121], v[88:89]
	v_add_f64_e64 v[88:89], v[5:6], -v[11:12]
	v_add_f64_e64 v[90:91], v[15:16], -v[19:20]
	s_delay_alu instid0(VALU_DEP_1) | instskip(SKIP_2) | instid1(VALU_DEP_1)
	v_add_f64_e32 v[136:137], v[88:89], v[90:91]
	v_add_f64_e64 v[88:89], v[8:9], -v[13:14]
	v_add_f64_e64 v[90:91], v[17:18], -v[21:22]
	v_add_f64_e32 v[138:139], v[88:89], v[90:91]
	ds_load_b128 v[88:91], v4
	ds_load_b128 v[128:131], v4 offset:880
	global_wb scope:SCOPE_SE
	s_wait_dscnt 0x0
	s_barrier_signal -1
	s_barrier_wait -1
	global_inv scope:SCOPE_SE
	v_fma_f64 v[140:141], v[132:133], -0.5, v[88:89]
	v_add_f64_e32 v[132:133], v[13:14], v[21:22]
	s_delay_alu instid0(VALU_DEP_1) | instskip(NEXT) | instid1(VALU_DEP_3)
	v_fma_f64 v[142:143], v[132:133], -0.5, v[90:91]
	v_fma_f64 v[132:133], v[144:145], s[14:15], v[140:141]
	v_fma_f64 v[140:141], v[144:145], s[16:17], v[140:141]
	s_delay_alu instid0(VALU_DEP_3) | instskip(SKIP_1) | instid1(VALU_DEP_4)
	v_fma_f64 v[134:135], v[148:149], s[16:17], v[142:143]
	v_fma_f64 v[142:143], v[148:149], s[14:15], v[142:143]
	;; [unrolled: 1-line block ×3, first 2 shown]
	s_wait_alu 0xfffe
	s_delay_alu instid0(VALU_DEP_4) | instskip(NEXT) | instid1(VALU_DEP_4)
	v_fma_f64 v[140:141], v[146:147], s[8:9], v[140:141]
	v_fma_f64 v[134:135], v[150:151], s[8:9], v[134:135]
	s_delay_alu instid0(VALU_DEP_4) | instskip(NEXT) | instid1(VALU_DEP_4)
	v_fma_f64 v[142:143], v[150:151], s[0:1], v[142:143]
	v_fma_f64 v[132:133], v[136:137], s[18:19], v[132:133]
	s_delay_alu instid0(VALU_DEP_4) | instskip(SKIP_4) | instid1(VALU_DEP_4)
	v_fma_f64 v[136:137], v[136:137], s[18:19], v[140:141]
	v_add_f64_e32 v[140:141], v[5:6], v[15:16]
	v_fma_f64 v[134:135], v[138:139], s[18:19], v[134:135]
	v_fma_f64 v[138:139], v[138:139], s[18:19], v[142:143]
	v_add_f64_e32 v[142:143], v[8:9], v[17:18]
	v_fma_f64 v[140:141], v[140:141], -0.5, v[88:89]
	v_add_f64_e32 v[88:89], v[88:89], v[5:6]
	v_add_f64_e64 v[5:6], v[11:12], -v[5:6]
	s_delay_alu instid0(VALU_DEP_4) | instskip(SKIP_3) | instid1(VALU_DEP_3)
	v_fma_f64 v[142:143], v[142:143], -0.5, v[90:91]
	v_add_f64_e32 v[90:91], v[90:91], v[8:9]
	v_add_f64_e64 v[8:9], v[13:14], -v[8:9]
	v_add_f64_e32 v[11:12], v[88:89], v[11:12]
	v_add_f64_e32 v[88:89], v[90:91], v[13:14]
	s_delay_alu instid0(VALU_DEP_2) | instskip(SKIP_1) | instid1(VALU_DEP_3)
	v_add_f64_e32 v[11:12], v[11:12], v[19:20]
	v_add_f64_e64 v[19:20], v[19:20], -v[15:16]
	v_add_f64_e32 v[13:14], v[88:89], v[21:22]
	s_delay_alu instid0(VALU_DEP_3)
	v_add_f64_e32 v[88:89], v[11:12], v[15:16]
	v_add_f64_e64 v[11:12], v[21:22], -v[17:18]
	v_fma_f64 v[15:16], v[146:147], s[14:15], v[140:141]
	v_fma_f64 v[21:22], v[150:151], s[16:17], v[142:143]
	v_add_f64_e32 v[5:6], v[5:6], v[19:20]
	v_add_f64_e32 v[90:91], v[13:14], v[17:18]
	v_fma_f64 v[13:14], v[146:147], s[16:17], v[140:141]
	v_fma_f64 v[17:18], v[150:151], s[14:15], v[142:143]
	v_add_f64_e32 v[8:9], v[8:9], v[11:12]
	s_delay_alu instid0(VALU_DEP_3) | instskip(SKIP_1) | instid1(VALU_DEP_4)
	v_fma_f64 v[11:12], v[144:145], s[0:1], v[13:14]
	v_fma_f64 v[13:14], v[144:145], s[8:9], v[15:16]
	;; [unrolled: 1-line block ×4, first 2 shown]
	v_add_f64_e64 v[21:22], v[23:24], -v[35:36]
	v_fma_f64 v[140:141], v[5:6], s[18:19], v[11:12]
	v_fma_f64 v[144:145], v[5:6], s[18:19], v[13:14]
	;; [unrolled: 1-line block ×4, first 2 shown]
	v_add_f64_e64 v[5:6], v[23:24], -v[27:28]
	v_add_f64_e64 v[8:9], v[35:36], -v[31:32]
	;; [unrolled: 1-line block ×3, first 2 shown]
	v_add_f64_e32 v[13:14], v[29:30], v[33:34]
	v_add_f64_e64 v[15:16], v[25:26], -v[37:38]
	v_add_f64_e64 v[17:18], v[29:30], -v[33:34]
	ds_store_b128 v1, v[88:91]
	ds_store_b128 v1, v[132:135] offset:176
	ds_store_b128 v1, v[140:143] offset:352
	;; [unrolled: 1-line block ×3, first 2 shown]
	scratch_store_b32 off, v1, off offset:292 ; 4-byte Folded Spill
	ds_store_b128 v1, v[136:139] offset:704
	v_and_b32_e32 v1, 0xffff, v39
	v_add_f64_e32 v[5:6], v[5:6], v[8:9]
	v_add_f64_e64 v[8:9], v[25:26], -v[29:30]
	v_fma_f64 v[13:14], v[13:14], -0.5, v[130:131]
	s_delay_alu instid0(VALU_DEP_4) | instskip(NEXT) | instid1(VALU_DEP_1)
	v_mul_u32_u24_e32 v1, 55, v1
	v_add_lshl_u32 v1, v1, v40, 4
	s_delay_alu instid0(VALU_DEP_4) | instskip(SKIP_3) | instid1(VALU_DEP_3)
	v_add_f64_e32 v[8:9], v[8:9], v[11:12]
	v_add_f64_e32 v[11:12], v[27:28], v[31:32]
	v_fma_f64 v[148:149], v[21:22], s[16:17], v[13:14]
	v_fma_f64 v[13:14], v[21:22], s[14:15], v[13:14]
	v_fma_f64 v[11:12], v[11:12], -0.5, v[128:129]
	s_delay_alu instid0(VALU_DEP_3) | instskip(NEXT) | instid1(VALU_DEP_3)
	v_fma_f64 v[150:151], v[156:157], s[8:9], v[148:149]
	v_fma_f64 v[13:14], v[156:157], s[0:1], v[13:14]
	s_delay_alu instid0(VALU_DEP_3) | instskip(SKIP_1) | instid1(VALU_DEP_3)
	v_fma_f64 v[19:20], v[15:16], s[14:15], v[11:12]
	v_fma_f64 v[11:12], v[15:16], s[16:17], v[11:12]
	;; [unrolled: 1-line block ×3, first 2 shown]
	v_add_f64_e32 v[13:14], v[130:131], v[25:26]
	v_fma_f64 v[150:151], v[8:9], s[18:19], v[150:151]
	v_add_f64_e32 v[8:9], v[25:26], v[37:38]
	v_fma_f64 v[19:20], v[17:18], s[0:1], v[19:20]
	v_fma_f64 v[11:12], v[17:18], s[8:9], v[11:12]
	v_add_f64_e32 v[13:14], v[13:14], v[29:30]
	s_delay_alu instid0(VALU_DEP_4) | instskip(NEXT) | instid1(VALU_DEP_4)
	v_fma_f64 v[8:9], v[8:9], -0.5, v[130:131]
	v_fma_f64 v[148:149], v[5:6], s[18:19], v[19:20]
	s_delay_alu instid0(VALU_DEP_4)
	v_fma_f64 v[152:153], v[5:6], s[18:19], v[11:12]
	v_add_f64_e32 v[11:12], v[128:129], v[23:24]
	v_add_f64_e32 v[5:6], v[23:24], v[35:36]
	;; [unrolled: 1-line block ×3, first 2 shown]
	v_add_f64_e64 v[19:20], v[27:28], -v[23:24]
	v_add_f64_e64 v[23:24], v[29:30], -v[25:26]
	;; [unrolled: 1-line block ×3, first 2 shown]
	v_add_f64_e32 v[11:12], v[11:12], v[27:28]
	v_fma_f64 v[5:6], v[5:6], -0.5, v[128:129]
	v_add_f64_e32 v[130:131], v[13:14], v[37:38]
	v_add_f64_e64 v[27:28], v[184:185], -v[180:181]
	v_add_f64_e32 v[19:20], v[19:20], v[25:26]
	v_add_f64_e32 v[11:12], v[11:12], v[31:32]
	v_fma_f64 v[13:14], v[17:18], s[16:17], v[5:6]
	v_fma_f64 v[5:6], v[17:18], s[14:15], v[5:6]
	;; [unrolled: 1-line block ×4, first 2 shown]
	v_add_f64_e32 v[128:129], v[11:12], v[35:36]
	v_add_f64_e64 v[11:12], v[33:34], -v[37:38]
	v_fma_f64 v[5:6], v[15:16], s[8:9], v[5:6]
	v_fma_f64 v[13:14], v[15:16], s[0:1], v[13:14]
	;; [unrolled: 1-line block ×4, first 2 shown]
	v_add_f64_e64 v[21:22], v[176:177], -v[180:181]
	v_add_f64_e64 v[17:18], v[174:175], -v[186:187]
	v_add_f64_e32 v[11:12], v[23:24], v[11:12]
	v_fma_f64 v[160:161], v[19:20], s[18:19], v[5:6]
	v_add_f64_e64 v[5:6], v[176:177], -v[172:173]
	v_fma_f64 v[156:157], v[19:20], s[18:19], v[13:14]
	v_add_f64_e32 v[13:14], v[174:175], v[186:187]
	v_add_f64_e64 v[23:24], v[172:173], -v[184:185]
	v_fma_f64 v[162:163], v[11:12], s[18:19], v[8:9]
	v_add_f64_e64 v[8:9], v[180:181], -v[184:185]
	v_fma_f64 v[158:159], v[11:12], s[18:19], v[15:16]
	v_add_f64_e64 v[11:12], v[182:183], -v[186:187]
	v_fma_f64 v[13:14], v[13:14], -0.5, v[94:95]
	v_add_f64_e64 v[15:16], v[178:179], -v[182:183]
	ds_store_b128 v1, v[128:131]
	ds_store_b128 v1, v[148:151] offset:176
	ds_store_b128 v1, v[156:159] offset:352
	;; [unrolled: 1-line block ×3, first 2 shown]
	v_add_f64_e32 v[5:6], v[5:6], v[8:9]
	v_add_f64_e64 v[8:9], v[178:179], -v[174:175]
	scratch_store_b32 off, v1, off offset:288 ; 4-byte Folded Spill
	v_fma_f64 v[25:26], v[21:22], s[14:15], v[13:14]
	v_fma_f64 v[13:14], v[21:22], s[16:17], v[13:14]
	ds_store_b128 v1, v[152:155] offset:704
	v_and_b32_e32 v1, 0xffff, v41
	s_delay_alu instid0(VALU_DEP_1) | instskip(NEXT) | instid1(VALU_DEP_1)
	v_mul_u32_u24_e32 v1, 55, v1
	v_add_lshl_u32 v1, v1, v42, 4
	v_add_f64_e32 v[8:9], v[8:9], v[11:12]
	v_add_f64_e32 v[11:12], v[172:173], v[184:185]
	v_fma_f64 v[25:26], v[23:24], s[8:9], v[25:26]
	v_fma_f64 v[13:14], v[23:24], s[0:1], v[13:14]
	s_delay_alu instid0(VALU_DEP_3) | instskip(NEXT) | instid1(VALU_DEP_3)
	v_fma_f64 v[11:12], v[11:12], -0.5, v[92:93]
	v_fma_f64 v[166:167], v[8:9], s[18:19], v[25:26]
	s_delay_alu instid0(VALU_DEP_3)
	v_fma_f64 v[170:171], v[8:9], s[18:19], v[13:14]
	v_add_f64_e32 v[13:14], v[94:95], v[174:175]
	v_add_f64_e32 v[8:9], v[178:179], v[182:183]
	v_add_f64_e64 v[25:26], v[174:175], -v[178:179]
	v_fma_f64 v[19:20], v[15:16], s[16:17], v[11:12]
	v_fma_f64 v[11:12], v[15:16], s[14:15], v[11:12]
	v_add_f64_e32 v[13:14], v[13:14], v[178:179]
	v_fma_f64 v[8:9], v[8:9], -0.5, v[94:95]
	s_delay_alu instid0(VALU_DEP_4) | instskip(NEXT) | instid1(VALU_DEP_4)
	v_fma_f64 v[19:20], v[17:18], s[0:1], v[19:20]
	v_fma_f64 v[11:12], v[17:18], s[8:9], v[11:12]
	s_delay_alu instid0(VALU_DEP_4) | instskip(NEXT) | instid1(VALU_DEP_3)
	v_add_f64_e32 v[13:14], v[13:14], v[182:183]
	v_fma_f64 v[164:165], v[5:6], s[18:19], v[19:20]
	s_delay_alu instid0(VALU_DEP_3) | instskip(SKIP_4) | instid1(VALU_DEP_4)
	v_fma_f64 v[168:169], v[5:6], s[18:19], v[11:12]
	v_add_f64_e32 v[11:12], v[92:93], v[172:173]
	v_add_f64_e32 v[5:6], v[176:177], v[180:181]
	v_add_f64_e64 v[19:20], v[172:173], -v[176:177]
	v_add_f64_e32 v[94:95], v[13:14], v[186:187]
	v_add_f64_e32 v[11:12], v[11:12], v[176:177]
	s_delay_alu instid0(VALU_DEP_4) | instskip(NEXT) | instid1(VALU_DEP_4)
	v_fma_f64 v[5:6], v[5:6], -0.5, v[92:93]
	v_add_f64_e32 v[19:20], v[19:20], v[27:28]
	s_delay_alu instid0(VALU_DEP_3) | instskip(NEXT) | instid1(VALU_DEP_3)
	v_add_f64_e32 v[11:12], v[11:12], v[180:181]
	v_fma_f64 v[13:14], v[17:18], s[14:15], v[5:6]
	v_fma_f64 v[5:6], v[17:18], s[16:17], v[5:6]
	;; [unrolled: 1-line block ×4, first 2 shown]
	v_add_f64_e32 v[92:93], v[11:12], v[184:185]
	v_add_f64_e64 v[11:12], v[186:187], -v[182:183]
	v_fma_f64 v[5:6], v[15:16], s[8:9], v[5:6]
	v_fma_f64 v[13:14], v[15:16], s[0:1], v[13:14]
	;; [unrolled: 1-line block ×4, first 2 shown]
	v_add_f64_e32 v[11:12], v[25:26], v[11:12]
	v_fma_f64 v[176:177], v[19:20], s[18:19], v[5:6]
	v_fma_f64 v[172:173], v[19:20], s[18:19], v[13:14]
	v_and_b32_e32 v5, 0xff, v2
	s_delay_alu instid0(VALU_DEP_1)
	v_lshlrev_b32_e32 v6, 6, v5
	v_fma_f64 v[178:179], v[11:12], s[18:19], v[8:9]
	v_fma_f64 v[174:175], v[11:12], s[18:19], v[15:16]
	ds_store_b128 v1, v[92:95]
	ds_store_b128 v1, v[172:175] offset:176
	ds_store_b128 v1, v[164:167] offset:352
	;; [unrolled: 1-line block ×3, first 2 shown]
	scratch_store_b32 off, v1, off offset:284 ; 4-byte Folded Spill
	ds_store_b128 v1, v[176:179] offset:704
	v_lshlrev_b32_e32 v1, 6, v44
	global_wb scope:SCOPE_SE
	s_wait_storecnt_dscnt 0x0
	s_barrier_signal -1
	s_barrier_wait -1
	global_inv scope:SCOPE_SE
	s_clause 0x1
	global_load_b128 v[88:91], v1, s[2:3] offset:704
	global_load_b128 v[92:95], v1, s[2:3] offset:720
	ds_load_b128 v[128:131], v4 offset:2640
	ds_load_b128 v[140:143], v4 offset:1760
	s_wait_loadcnt_dscnt 0x101
	v_mul_f64_e32 v[11:12], v[130:131], v[90:91]
	v_mul_f64_e32 v[13:14], v[128:129], v[90:91]
	s_delay_alu instid0(VALU_DEP_2) | instskip(NEXT) | instid1(VALU_DEP_2)
	v_fma_f64 v[11:12], v[128:129], v[88:89], -v[11:12]
	v_fma_f64 v[13:14], v[130:131], v[88:89], v[13:14]
	ds_load_b128 v[128:131], v4 offset:5280
	ds_load_b128 v[144:147], v4 offset:6160
	s_clause 0x1
	global_load_b128 v[132:135], v1, s[2:3] offset:752
	global_load_b128 v[136:139], v1, s[2:3] offset:736
	s_wait_loadcnt_dscnt 0x201
	v_mul_f64_e32 v[15:16], v[130:131], v[94:95]
	v_mul_f64_e32 v[17:18], v[128:129], v[94:95]
	s_wait_dscnt 0x0
	v_mul_f64_e32 v[31:32], v[146:147], v[94:95]
	v_mul_f64_e32 v[33:34], v[144:145], v[94:95]
	s_delay_alu instid0(VALU_DEP_4) | instskip(NEXT) | instid1(VALU_DEP_4)
	v_fma_f64 v[15:16], v[128:129], v[92:93], -v[15:16]
	v_fma_f64 v[17:18], v[130:131], v[92:93], v[17:18]
	ds_load_b128 v[128:131], v4 offset:10560
	ds_load_b128 v[148:151], v4 offset:11440
	v_fma_f64 v[31:32], v[144:145], v[92:93], -v[31:32]
	v_fma_f64 v[33:34], v[146:147], v[92:93], v[33:34]
	s_wait_loadcnt_dscnt 0x101
	v_mul_f64_e32 v[19:20], v[130:131], v[134:135]
	v_mul_f64_e32 v[21:22], v[128:129], v[134:135]
	s_delay_alu instid0(VALU_DEP_2) | instskip(NEXT) | instid1(VALU_DEP_2)
	v_fma_f64 v[19:20], v[128:129], v[132:133], -v[19:20]
	v_fma_f64 v[21:22], v[130:131], v[132:133], v[21:22]
	ds_load_b128 v[128:131], v4 offset:7920
	ds_load_b128 v[152:155], v4 offset:7040
	s_wait_loadcnt_dscnt 0x1
	v_mul_f64_e32 v[23:24], v[130:131], v[138:139]
	v_mul_f64_e32 v[25:26], v[128:129], v[138:139]
	v_add_f64_e64 v[180:181], v[11:12], -v[19:20]
	v_add_f64_e64 v[176:177], v[13:14], -v[21:22]
	s_delay_alu instid0(VALU_DEP_4) | instskip(NEXT) | instid1(VALU_DEP_4)
	v_fma_f64 v[23:24], v[128:129], v[136:137], -v[23:24]
	v_fma_f64 v[25:26], v[130:131], v[136:137], v[25:26]
	ds_load_b128 v[128:131], v4 offset:3520
	ds_load_b128 v[156:159], v4 offset:4400
	s_wait_dscnt 0x1
	v_mul_f64_e32 v[27:28], v[130:131], v[90:91]
	v_mul_f64_e32 v[29:30], v[128:129], v[90:91]
	v_add_f64_e32 v[164:165], v[15:16], v[23:24]
	v_add_f64_e64 v[178:179], v[17:18], -v[25:26]
	v_add_f64_e64 v[182:183], v[15:16], -v[23:24]
	v_fma_f64 v[27:28], v[128:129], v[88:89], -v[27:28]
	v_fma_f64 v[29:30], v[130:131], v[88:89], v[29:30]
	ds_load_b128 v[128:131], v4 offset:8800
	ds_load_b128 v[160:163], v4 offset:9680
	s_wait_dscnt 0x1
	v_mul_f64_e32 v[35:36], v[130:131], v[138:139]
	v_mul_f64_e32 v[37:38], v[128:129], v[138:139]
	s_delay_alu instid0(VALU_DEP_2) | instskip(SKIP_1) | instid1(VALU_DEP_3)
	v_fma_f64 v[35:36], v[128:129], v[136:137], -v[35:36]
	v_mul_f64_e32 v[128:129], v[150:151], v[134:135]
	v_fma_f64 v[37:38], v[130:131], v[136:137], v[37:38]
	s_delay_alu instid0(VALU_DEP_3) | instskip(NEXT) | instid1(VALU_DEP_3)
	v_add_f64_e64 v[192:193], v[31:32], -v[35:36]
	v_fma_f64 v[188:189], v[148:149], v[132:133], -v[128:129]
	v_mul_f64_e32 v[128:129], v[148:149], v[134:135]
	s_delay_alu instid0(VALU_DEP_1)
	v_fma_f64 v[190:191], v[150:151], v[132:133], v[128:129]
	s_clause 0x1
	global_load_b128 v[148:151], v6, s[2:3] offset:704
	global_load_b128 v[144:147], v6, s[2:3] offset:720
	s_wait_loadcnt 0x1
	v_mul_f64_e32 v[128:129], v[156:157], v[150:151]
	v_mul_f64_e32 v[2:3], v[158:159], v[150:151]
	s_delay_alu instid0(VALU_DEP_2) | instskip(SKIP_2) | instid1(VALU_DEP_3)
	v_fma_f64 v[204:205], v[158:159], v[148:149], v[128:129]
	s_wait_loadcnt 0x0
	v_mul_f64_e32 v[128:129], v[154:155], v[146:147]
	v_fma_f64 v[2:3], v[156:157], v[148:149], -v[2:3]
	s_delay_alu instid0(VALU_DEP_2) | instskip(SKIP_1) | instid1(VALU_DEP_1)
	v_fma_f64 v[206:207], v[152:153], v[144:145], -v[128:129]
	v_mul_f64_e32 v[128:129], v[152:153], v[146:147]
	v_fma_f64 v[208:209], v[154:155], v[144:145], v[128:129]
	s_clause 0x1
	global_load_b128 v[156:159], v6, s[2:3] offset:736
	global_load_b128 v[152:155], v6, s[2:3] offset:752
	s_wait_loadcnt_dscnt 0x100
	v_mul_f64_e32 v[128:129], v[162:163], v[158:159]
	s_delay_alu instid0(VALU_DEP_1) | instskip(SKIP_1) | instid1(VALU_DEP_1)
	v_fma_f64 v[210:211], v[160:161], v[156:157], -v[128:129]
	v_mul_f64_e32 v[128:129], v[160:161], v[158:159]
	v_fma_f64 v[212:213], v[162:163], v[156:157], v[128:129]
	ds_load_b128 v[128:131], v4 offset:12320
	s_wait_loadcnt_dscnt 0x0
	v_mul_f64_e32 v[160:161], v[130:131], v[154:155]
	s_delay_alu instid0(VALU_DEP_1) | instskip(SKIP_1) | instid1(VALU_DEP_1)
	v_fma_f64 v[214:215], v[128:129], v[152:153], -v[160:161]
	v_mul_f64_e32 v[128:129], v[128:129], v[154:155]
	v_fma_f64 v[216:217], v[130:131], v[152:153], v[128:129]
	v_add_f64_e64 v[128:129], v[11:12], -v[15:16]
	v_add_f64_e64 v[130:131], v[19:20], -v[23:24]
	s_delay_alu instid0(VALU_DEP_1) | instskip(SKIP_2) | instid1(VALU_DEP_1)
	v_add_f64_e32 v[168:169], v[128:129], v[130:131]
	v_add_f64_e64 v[128:129], v[13:14], -v[17:18]
	v_add_f64_e64 v[130:131], v[21:22], -v[25:26]
	v_add_f64_e32 v[170:171], v[128:129], v[130:131]
	ds_load_b128 v[128:131], v4
	ds_load_b128 v[160:163], v4 offset:880
	global_wb scope:SCOPE_SE
	s_wait_dscnt 0x0
	s_barrier_signal -1
	s_barrier_wait -1
	global_inv scope:SCOPE_SE
	v_fma_f64 v[172:173], v[164:165], -0.5, v[128:129]
	v_add_f64_e32 v[164:165], v[17:18], v[25:26]
	s_delay_alu instid0(VALU_DEP_1) | instskip(NEXT) | instid1(VALU_DEP_3)
	v_fma_f64 v[174:175], v[164:165], -0.5, v[130:131]
	v_fma_f64 v[164:165], v[176:177], s[14:15], v[172:173]
	v_fma_f64 v[172:173], v[176:177], s[16:17], v[172:173]
	s_delay_alu instid0(VALU_DEP_3) | instskip(SKIP_1) | instid1(VALU_DEP_4)
	v_fma_f64 v[166:167], v[180:181], s[16:17], v[174:175]
	v_fma_f64 v[174:175], v[180:181], s[14:15], v[174:175]
	;; [unrolled: 1-line block ×3, first 2 shown]
	s_delay_alu instid0(VALU_DEP_4) | instskip(NEXT) | instid1(VALU_DEP_4)
	v_fma_f64 v[172:173], v[178:179], s[8:9], v[172:173]
	v_fma_f64 v[166:167], v[182:183], s[8:9], v[166:167]
	s_delay_alu instid0(VALU_DEP_4) | instskip(NEXT) | instid1(VALU_DEP_4)
	v_fma_f64 v[174:175], v[182:183], s[0:1], v[174:175]
	v_fma_f64 v[164:165], v[168:169], s[18:19], v[164:165]
	s_delay_alu instid0(VALU_DEP_4) | instskip(SKIP_4) | instid1(VALU_DEP_4)
	v_fma_f64 v[168:169], v[168:169], s[18:19], v[172:173]
	v_add_f64_e32 v[172:173], v[11:12], v[19:20]
	v_fma_f64 v[166:167], v[170:171], s[18:19], v[166:167]
	v_fma_f64 v[170:171], v[170:171], s[18:19], v[174:175]
	v_add_f64_e32 v[174:175], v[13:14], v[21:22]
	v_fma_f64 v[172:173], v[172:173], -0.5, v[128:129]
	v_add_f64_e32 v[128:129], v[128:129], v[11:12]
	v_add_f64_e64 v[11:12], v[15:16], -v[11:12]
	s_delay_alu instid0(VALU_DEP_4) | instskip(SKIP_3) | instid1(VALU_DEP_3)
	v_fma_f64 v[174:175], v[174:175], -0.5, v[130:131]
	v_add_f64_e32 v[130:131], v[130:131], v[13:14]
	v_add_f64_e64 v[13:14], v[17:18], -v[13:14]
	v_add_f64_e32 v[15:16], v[128:129], v[15:16]
	v_add_f64_e32 v[128:129], v[130:131], v[17:18]
	s_delay_alu instid0(VALU_DEP_2) | instskip(SKIP_1) | instid1(VALU_DEP_3)
	v_add_f64_e32 v[15:16], v[15:16], v[23:24]
	v_add_f64_e64 v[23:24], v[23:24], -v[19:20]
	v_add_f64_e32 v[17:18], v[128:129], v[25:26]
	s_delay_alu instid0(VALU_DEP_3)
	v_add_f64_e32 v[128:129], v[15:16], v[19:20]
	v_add_f64_e64 v[15:16], v[25:26], -v[21:22]
	v_fma_f64 v[19:20], v[178:179], s[14:15], v[172:173]
	v_fma_f64 v[25:26], v[182:183], s[16:17], v[174:175]
	v_add_f64_e32 v[11:12], v[11:12], v[23:24]
	v_add_f64_e32 v[130:131], v[17:18], v[21:22]
	v_fma_f64 v[17:18], v[178:179], s[16:17], v[172:173]
	v_fma_f64 v[21:22], v[182:183], s[14:15], v[174:175]
	v_add_f64_e32 v[13:14], v[13:14], v[15:16]
	s_delay_alu instid0(VALU_DEP_3) | instskip(SKIP_1) | instid1(VALU_DEP_4)
	v_fma_f64 v[15:16], v[176:177], s[0:1], v[17:18]
	v_fma_f64 v[17:18], v[176:177], s[8:9], v[19:20]
	;; [unrolled: 1-line block ×4, first 2 shown]
	v_add_f64_e64 v[25:26], v[27:28], -v[188:189]
	v_fma_f64 v[172:173], v[11:12], s[18:19], v[15:16]
	v_fma_f64 v[176:177], v[11:12], s[18:19], v[17:18]
	;; [unrolled: 1-line block ×4, first 2 shown]
	v_add_f64_e64 v[11:12], v[27:28], -v[31:32]
	v_add_f64_e64 v[13:14], v[188:189], -v[35:36]
	;; [unrolled: 1-line block ×3, first 2 shown]
	v_add_f64_e32 v[17:18], v[33:34], v[37:38]
	v_add_f64_e64 v[19:20], v[29:30], -v[190:191]
	v_add_f64_e64 v[21:22], v[33:34], -v[37:38]
	v_add_f64_e32 v[11:12], v[11:12], v[13:14]
	v_add_f64_e64 v[13:14], v[29:30], -v[33:34]
	v_fma_f64 v[17:18], v[17:18], -0.5, v[162:163]
	s_delay_alu instid0(VALU_DEP_2) | instskip(SKIP_1) | instid1(VALU_DEP_3)
	v_add_f64_e32 v[13:14], v[13:14], v[15:16]
	v_add_f64_e32 v[15:16], v[31:32], v[35:36]
	v_fma_f64 v[180:181], v[25:26], s[16:17], v[17:18]
	v_fma_f64 v[17:18], v[25:26], s[14:15], v[17:18]
	s_delay_alu instid0(VALU_DEP_3) | instskip(NEXT) | instid1(VALU_DEP_3)
	v_fma_f64 v[15:16], v[15:16], -0.5, v[160:161]
	v_fma_f64 v[182:183], v[192:193], s[8:9], v[180:181]
	s_delay_alu instid0(VALU_DEP_3) | instskip(NEXT) | instid1(VALU_DEP_3)
	v_fma_f64 v[17:18], v[192:193], s[0:1], v[17:18]
	v_fma_f64 v[23:24], v[19:20], s[14:15], v[15:16]
	;; [unrolled: 1-line block ×3, first 2 shown]
	s_delay_alu instid0(VALU_DEP_3)
	v_fma_f64 v[186:187], v[13:14], s[18:19], v[17:18]
	v_add_f64_e32 v[17:18], v[162:163], v[29:30]
	v_fma_f64 v[182:183], v[13:14], s[18:19], v[182:183]
	v_add_f64_e32 v[13:14], v[29:30], v[190:191]
	v_fma_f64 v[23:24], v[21:22], s[0:1], v[23:24]
	v_fma_f64 v[15:16], v[21:22], s[8:9], v[15:16]
	v_add_f64_e32 v[17:18], v[17:18], v[33:34]
	s_delay_alu instid0(VALU_DEP_4) | instskip(NEXT) | instid1(VALU_DEP_4)
	v_fma_f64 v[13:14], v[13:14], -0.5, v[162:163]
	v_fma_f64 v[180:181], v[11:12], s[18:19], v[23:24]
	s_delay_alu instid0(VALU_DEP_4)
	v_fma_f64 v[184:185], v[11:12], s[18:19], v[15:16]
	v_add_f64_e32 v[15:16], v[160:161], v[27:28]
	v_add_f64_e32 v[11:12], v[27:28], v[188:189]
	;; [unrolled: 1-line block ×3, first 2 shown]
	v_add_f64_e64 v[23:24], v[31:32], -v[27:28]
	v_add_f64_e64 v[27:28], v[33:34], -v[29:30]
	v_add_f64_e64 v[29:30], v[35:36], -v[188:189]
	v_add_f64_e32 v[15:16], v[15:16], v[31:32]
	v_fma_f64 v[11:12], v[11:12], -0.5, v[160:161]
	v_add_f64_e32 v[162:163], v[17:18], v[190:191]
	s_delay_alu instid0(VALU_DEP_4) | instskip(NEXT) | instid1(VALU_DEP_4)
	v_add_f64_e32 v[23:24], v[23:24], v[29:30]
	v_add_f64_e32 v[15:16], v[15:16], v[35:36]
	s_delay_alu instid0(VALU_DEP_4)
	v_fma_f64 v[17:18], v[21:22], s[16:17], v[11:12]
	v_fma_f64 v[11:12], v[21:22], s[14:15], v[11:12]
	;; [unrolled: 1-line block ×4, first 2 shown]
	v_add_f64_e32 v[160:161], v[15:16], v[188:189]
	v_add_f64_e64 v[15:16], v[37:38], -v[190:191]
	v_fma_f64 v[11:12], v[19:20], s[8:9], v[11:12]
	v_fma_f64 v[17:18], v[19:20], s[0:1], v[17:18]
	;; [unrolled: 1-line block ×4, first 2 shown]
	v_add_f64_e64 v[25:26], v[206:207], -v[210:211]
	v_add_f64_e64 v[21:22], v[204:205], -v[216:217]
	v_add_f64_e32 v[15:16], v[27:28], v[15:16]
	v_fma_f64 v[192:193], v[23:24], s[18:19], v[11:12]
	v_add_f64_e64 v[11:12], v[206:207], -v[2:3]
	v_fma_f64 v[188:189], v[23:24], s[18:19], v[17:18]
	v_add_f64_e32 v[17:18], v[204:205], v[216:217]
	v_add_f64_e64 v[27:28], v[2:3], -v[214:215]
	v_fma_f64 v[194:195], v[15:16], s[18:19], v[13:14]
	v_add_f64_e64 v[13:14], v[210:211], -v[214:215]
	v_fma_f64 v[190:191], v[15:16], s[18:19], v[19:20]
	v_add_f64_e64 v[15:16], v[212:213], -v[216:217]
	v_fma_f64 v[17:18], v[17:18], -0.5, v[142:143]
	v_add_f64_e64 v[19:20], v[208:209], -v[212:213]
	ds_store_b128 v4, v[128:131]
	ds_store_b128 v4, v[164:167] offset:880
	ds_store_b128 v4, v[172:175] offset:1760
	;; [unrolled: 1-line block ×9, first 2 shown]
	v_add_f64_e32 v[11:12], v[11:12], v[13:14]
	v_add_f64_e64 v[13:14], v[208:209], -v[204:205]
	v_fma_f64 v[29:30], v[25:26], s[14:15], v[17:18]
	v_fma_f64 v[17:18], v[25:26], s[16:17], v[17:18]
	s_delay_alu instid0(VALU_DEP_3) | instskip(SKIP_1) | instid1(VALU_DEP_4)
	v_add_f64_e32 v[13:14], v[13:14], v[15:16]
	v_add_f64_e32 v[15:16], v[2:3], v[214:215]
	v_fma_f64 v[29:30], v[27:28], s[8:9], v[29:30]
	s_delay_alu instid0(VALU_DEP_4) | instskip(NEXT) | instid1(VALU_DEP_3)
	v_fma_f64 v[17:18], v[27:28], s[0:1], v[17:18]
	v_fma_f64 v[15:16], v[15:16], -0.5, v[140:141]
	s_delay_alu instid0(VALU_DEP_3) | instskip(NEXT) | instid1(VALU_DEP_3)
	v_fma_f64 v[198:199], v[13:14], s[18:19], v[29:30]
	v_fma_f64 v[202:203], v[13:14], s[18:19], v[17:18]
	v_add_f64_e32 v[17:18], v[142:143], v[204:205]
	v_add_f64_e32 v[13:14], v[208:209], v[212:213]
	v_add_f64_e64 v[29:30], v[214:215], -v[210:211]
	v_fma_f64 v[23:24], v[19:20], s[16:17], v[15:16]
	v_fma_f64 v[15:16], v[19:20], s[14:15], v[15:16]
	v_add_f64_e32 v[17:18], v[17:18], v[208:209]
	v_fma_f64 v[13:14], v[13:14], -0.5, v[142:143]
	s_delay_alu instid0(VALU_DEP_4) | instskip(NEXT) | instid1(VALU_DEP_4)
	v_fma_f64 v[23:24], v[21:22], s[0:1], v[23:24]
	v_fma_f64 v[15:16], v[21:22], s[8:9], v[15:16]
	s_delay_alu instid0(VALU_DEP_4) | instskip(NEXT) | instid1(VALU_DEP_3)
	v_add_f64_e32 v[17:18], v[17:18], v[212:213]
	v_fma_f64 v[196:197], v[11:12], s[18:19], v[23:24]
	s_delay_alu instid0(VALU_DEP_3)
	v_fma_f64 v[200:201], v[11:12], s[18:19], v[15:16]
	v_add_f64_e32 v[15:16], v[140:141], v[2:3]
	v_add_f64_e32 v[11:12], v[206:207], v[210:211]
	v_add_f64_e64 v[2:3], v[2:3], -v[206:207]
	v_add_f64_e64 v[23:24], v[204:205], -v[208:209]
	v_add_f64_e32 v[142:143], v[17:18], v[216:217]
	v_add_f64_e32 v[15:16], v[15:16], v[206:207]
	v_fma_f64 v[11:12], v[11:12], -0.5, v[140:141]
	v_add_f64_e32 v[2:3], v[2:3], v[29:30]
	s_delay_alu instid0(VALU_DEP_3) | instskip(NEXT) | instid1(VALU_DEP_3)
	v_add_f64_e32 v[15:16], v[15:16], v[210:211]
	v_fma_f64 v[17:18], v[21:22], s[14:15], v[11:12]
	v_fma_f64 v[11:12], v[21:22], s[16:17], v[11:12]
	;; [unrolled: 1-line block ×4, first 2 shown]
	v_add_f64_e32 v[140:141], v[15:16], v[214:215]
	v_add_f64_e64 v[15:16], v[216:217], -v[212:213]
	v_fma_f64 v[11:12], v[19:20], s[8:9], v[11:12]
	v_fma_f64 v[17:18], v[19:20], s[0:1], v[17:18]
	;; [unrolled: 1-line block ×4, first 2 shown]
	v_add_co_u32 v1, s0, s2, v1
	v_add_f64_e32 v[15:16], v[23:24], v[15:16]
	v_fma_f64 v[208:209], v[2:3], s[18:19], v[11:12]
	v_fma_f64 v[204:205], v[2:3], s[18:19], v[17:18]
	v_lshlrev_b32_e32 v2, 4, v5
	v_lshlrev_b32_e32 v5, 5, v44
	v_fma_f64 v[210:211], v[15:16], s[18:19], v[13:14]
	v_fma_f64 v[206:207], v[15:16], s[18:19], v[19:20]
	ds_store_b128 v2, v[140:143] offset:8800
	ds_store_b128 v2, v[204:207] offset:9680
	;; [unrolled: 1-line block ×4, first 2 shown]
	scratch_store_b32 off, v2, off offset:296 ; 4-byte Folded Spill
	ds_store_b128 v2, v[208:211] offset:12320
	s_wait_alu 0xf1ff
	v_add_co_ci_u32_e64 v2, null, s3, 0, s0
	v_sub_co_u32 v1, s0, v1, v5
	global_wb scope:SCOPE_SE
	s_wait_storecnt_dscnt 0x0
	s_wait_alu 0xf1ff
	v_subrev_co_ci_u32_e64 v2, s0, 0, v2, s0
	s_barrier_signal -1
	s_barrier_wait -1
	global_inv scope:SCOPE_SE
	s_clause 0x1
	global_load_b128 v[128:131], v[1:2], off offset:4224
	global_load_b128 v[140:143], v[1:2], off offset:4240
	ds_load_b128 v[160:163], v4 offset:4400
	ds_load_b128 v[196:199], v4 offset:3520
	s_mov_b32 s0, 0xe8584caa
	s_mov_b32 s1, 0x3febb67a
	s_wait_loadcnt_dscnt 0x101
	v_mul_f64_e32 v[1:2], v[162:163], v[130:131]
	s_delay_alu instid0(VALU_DEP_1) | instskip(SKIP_1) | instid1(VALU_DEP_1)
	v_fma_f64 v[11:12], v[160:161], v[128:129], -v[1:2]
	v_mul_f64_e32 v[1:2], v[160:161], v[130:131]
	v_fma_f64 v[13:14], v[162:163], v[128:129], v[1:2]
	ds_load_b128 v[160:163], v4 offset:8800
	ds_load_b128 v[168:171], v4 offset:9680
	s_wait_loadcnt_dscnt 0x1
	v_mul_f64_e32 v[1:2], v[162:163], v[142:143]
	s_delay_alu instid0(VALU_DEP_1) | instskip(SKIP_1) | instid1(VALU_DEP_2)
	v_fma_f64 v[15:16], v[160:161], v[140:141], -v[1:2]
	v_mul_f64_e32 v[1:2], v[160:161], v[142:143]
	v_add_f64_e32 v[41:42], v[11:12], v[15:16]
	s_delay_alu instid0(VALU_DEP_2)
	v_fma_f64 v[17:18], v[162:163], v[140:141], v[1:2]
	v_lshlrev_b32_e32 v1, 5, v10
	s_clause 0x1
	global_load_b128 v[164:167], v1, s[2:3] offset:4224
	global_load_b128 v[160:163], v1, s[2:3] offset:4240
	ds_load_b128 v[172:175], v4 offset:5280
	ds_load_b128 v[176:179], v4 offset:6160
	v_add_f64_e32 v[200:201], v[13:14], v[17:18]
	s_wait_loadcnt_dscnt 0x101
	v_mul_f64_e32 v[1:2], v[174:175], v[166:167]
	s_delay_alu instid0(VALU_DEP_1) | instskip(SKIP_1) | instid1(VALU_DEP_1)
	v_fma_f64 v[19:20], v[172:173], v[164:165], -v[1:2]
	v_mul_f64_e32 v[1:2], v[172:173], v[166:167]
	v_fma_f64 v[21:22], v[174:175], v[164:165], v[1:2]
	s_wait_loadcnt 0x0
	v_mul_f64_e32 v[1:2], v[170:171], v[162:163]
	s_delay_alu instid0(VALU_DEP_1) | instskip(SKIP_1) | instid1(VALU_DEP_1)
	v_fma_f64 v[23:24], v[168:169], v[160:161], -v[1:2]
	v_mul_f64_e32 v[1:2], v[168:169], v[162:163]
	v_fma_f64 v[25:26], v[170:171], v[160:161], v[1:2]
	s_clause 0x1
	global_load_b128 v[172:175], v0, s[2:3] offset:4224
	global_load_b128 v[168:171], v0, s[2:3] offset:4240
	s_wait_loadcnt_dscnt 0x100
	v_mul_f64_e32 v[0:1], v[178:179], v[174:175]
	s_delay_alu instid0(VALU_DEP_1) | instskip(SKIP_1) | instid1(VALU_DEP_1)
	v_fma_f64 v[27:28], v[176:177], v[172:173], -v[0:1]
	v_mul_f64_e32 v[0:1], v[176:177], v[174:175]
	v_fma_f64 v[29:30], v[178:179], v[172:173], v[0:1]
	ds_load_b128 v[0:3], v4 offset:10560
	ds_load_b128 v[184:187], v4 offset:11440
	s_wait_loadcnt_dscnt 0x1
	v_mul_f64_e32 v[31:32], v[2:3], v[170:171]
	s_delay_alu instid0(VALU_DEP_1) | instskip(SKIP_1) | instid1(VALU_DEP_1)
	v_fma_f64 v[31:32], v[0:1], v[168:169], -v[31:32]
	v_mul_f64_e32 v[0:1], v[0:1], v[170:171]
	v_fma_f64 v[33:34], v[2:3], v[168:169], v[0:1]
	v_add_nc_u32_e32 v0, 0x14a0, v5
	s_clause 0x1
	global_load_b128 v[180:183], v0, s[2:3] offset:4224
	global_load_b128 v[176:179], v0, s[2:3] offset:4240
	ds_load_b128 v[0:3], v4 offset:7040
	ds_load_b128 v[192:195], v4 offset:7920
	s_wait_loadcnt_dscnt 0x101
	v_mul_f64_e32 v[35:36], v[2:3], v[182:183]
	s_delay_alu instid0(VALU_DEP_1) | instskip(SKIP_1) | instid1(VALU_DEP_1)
	v_fma_f64 v[35:36], v[0:1], v[180:181], -v[35:36]
	v_mul_f64_e32 v[0:1], v[0:1], v[182:183]
	v_fma_f64 v[37:38], v[2:3], v[180:181], v[0:1]
	s_wait_loadcnt 0x0
	v_mul_f64_e32 v[0:1], v[186:187], v[178:179]
	s_delay_alu instid0(VALU_DEP_1) | instskip(SKIP_1) | instid1(VALU_DEP_1)
	v_fma_f64 v[204:205], v[184:185], v[176:177], -v[0:1]
	v_mul_f64_e32 v[0:1], v[184:185], v[178:179]
	v_fma_f64 v[206:207], v[186:187], v[176:177], v[0:1]
	v_add_nc_u32_e32 v0, 0x1b80, v5
	s_clause 0x1
	global_load_b128 v[188:191], v0, s[2:3] offset:4224
	global_load_b128 v[184:187], v0, s[2:3] offset:4240
	s_mov_b32 s3, 0xbfebb67a
	s_wait_alu 0xfffe
	s_mov_b32 s2, s0
	s_wait_loadcnt_dscnt 0x100
	v_mul_f64_e32 v[0:1], v[194:195], v[190:191]
	s_delay_alu instid0(VALU_DEP_1) | instskip(SKIP_1) | instid1(VALU_DEP_1)
	v_fma_f64 v[248:249], v[192:193], v[188:189], -v[0:1]
	v_mul_f64_e32 v[0:1], v[192:193], v[190:191]
	v_fma_f64 v[250:251], v[194:195], v[188:189], v[0:1]
	ds_load_b128 v[0:3], v4 offset:12320
	s_wait_loadcnt_dscnt 0x0
	v_mul_f64_e32 v[192:193], v[2:3], v[186:187]
	s_delay_alu instid0(VALU_DEP_1) | instskip(SKIP_1) | instid1(VALU_DEP_1)
	v_fma_f64 v[254:255], v[0:1], v[184:185], -v[192:193]
	v_mul_f64_e32 v[0:1], v[0:1], v[186:187]
	v_fma_f64 v[39:40], v[2:3], v[184:185], v[0:1]
	ds_load_b128 v[0:3], v4
	ds_load_b128 v[192:195], v4 offset:880
	s_wait_dscnt 0x1
	v_fma_f64 v[41:42], v[41:42], -0.5, v[0:1]
	v_fma_f64 v[200:201], v[200:201], -0.5, v[2:3]
	v_add_f64_e32 v[2:3], v[2:3], v[13:14]
	v_add_f64_e32 v[0:1], v[0:1], v[11:12]
	v_add_f64_e64 v[13:14], v[13:14], -v[17:18]
	v_add_f64_e64 v[10:11], v[11:12], -v[15:16]
	s_delay_alu instid0(VALU_DEP_4) | instskip(NEXT) | instid1(VALU_DEP_4)
	v_add_f64_e32 v[2:3], v[2:3], v[17:18]
	v_add_f64_e32 v[0:1], v[0:1], v[15:16]
	s_delay_alu instid0(VALU_DEP_4)
	v_fma_f64 v[208:209], v[13:14], s[0:1], v[41:42]
	s_wait_alu 0xfffe
	v_fma_f64 v[212:213], v[13:14], s[2:3], v[41:42]
	v_fma_f64 v[210:211], v[10:11], s[2:3], v[200:201]
	;; [unrolled: 1-line block ×3, first 2 shown]
	v_add_f64_e32 v[10:11], v[19:20], v[23:24]
	v_add_f64_e32 v[12:13], v[21:22], v[25:26]
	s_wait_dscnt 0x0
	v_add_f64_e32 v[14:15], v[194:195], v[21:22]
	v_add_f64_e64 v[21:22], v[21:22], -v[25:26]
	v_add_f64_e32 v[16:17], v[192:193], v[19:20]
	v_fma_f64 v[10:11], v[10:11], -0.5, v[192:193]
	v_fma_f64 v[12:13], v[12:13], -0.5, v[194:195]
	v_add_f64_e32 v[218:219], v[14:15], v[25:26]
	v_add_f64_e64 v[14:15], v[19:20], -v[23:24]
	ds_load_b128 v[192:195], v4 offset:1760
	ds_load_b128 v[200:203], v4 offset:2640
	v_add_f64_e64 v[18:19], v[29:30], -v[33:34]
	v_add_f64_e32 v[216:217], v[16:17], v[23:24]
	s_wait_dscnt 0x1
	v_add_f64_e32 v[16:17], v[192:193], v[27:28]
	v_fma_f64 v[220:221], v[21:22], s[0:1], v[10:11]
	v_fma_f64 v[224:225], v[21:22], s[2:3], v[10:11]
	v_add_f64_e32 v[10:11], v[27:28], v[31:32]
	v_fma_f64 v[222:223], v[14:15], s[2:3], v[12:13]
	v_fma_f64 v[226:227], v[14:15], s[0:1], v[12:13]
	v_add_f64_e32 v[12:13], v[29:30], v[33:34]
	v_add_f64_e32 v[14:15], v[194:195], v[29:30]
	;; [unrolled: 1-line block ×3, first 2 shown]
	s_wait_dscnt 0x0
	v_add_f64_e32 v[16:17], v[200:201], v[35:36]
	v_fma_f64 v[10:11], v[10:11], -0.5, v[192:193]
	v_fma_f64 v[12:13], v[12:13], -0.5, v[194:195]
	v_add_f64_e32 v[230:231], v[14:15], v[33:34]
	v_add_f64_e64 v[14:15], v[27:28], -v[31:32]
	v_add_f64_e32 v[240:241], v[16:17], v[204:205]
	v_add_f64_e32 v[16:17], v[196:197], v[248:249]
	v_fma_f64 v[232:233], v[18:19], s[0:1], v[10:11]
	v_fma_f64 v[236:237], v[18:19], s[2:3], v[10:11]
	v_add_f64_e32 v[10:11], v[35:36], v[204:205]
	v_add_f64_e64 v[18:19], v[37:38], -v[206:207]
	v_fma_f64 v[234:235], v[14:15], s[2:3], v[12:13]
	v_fma_f64 v[238:239], v[14:15], s[0:1], v[12:13]
	v_add_f64_e32 v[12:13], v[37:38], v[206:207]
	v_add_f64_e32 v[14:15], v[202:203], v[37:38]
	v_fma_f64 v[10:11], v[10:11], -0.5, v[200:201]
	s_delay_alu instid0(VALU_DEP_3) | instskip(NEXT) | instid1(VALU_DEP_3)
	v_fma_f64 v[12:13], v[12:13], -0.5, v[202:203]
	v_add_f64_e32 v[242:243], v[14:15], v[206:207]
	v_add_f64_e64 v[14:15], v[35:36], -v[204:205]
	s_delay_alu instid0(VALU_DEP_4)
	v_fma_f64 v[244:245], v[18:19], s[0:1], v[10:11]
	v_fma_f64 v[192:193], v[18:19], s[2:3], v[10:11]
	v_add_f64_e32 v[10:11], v[248:249], v[254:255]
	v_add_f64_e64 v[18:19], v[250:251], -v[39:40]
	v_fma_f64 v[194:195], v[14:15], s[0:1], v[12:13]
	v_fma_f64 v[246:247], v[14:15], s[2:3], v[12:13]
	v_add_f64_e32 v[12:13], v[250:251], v[39:40]
	v_add_f64_e32 v[14:15], v[198:199], v[250:251]
	v_fma_f64 v[10:11], v[10:11], -0.5, v[196:197]
	v_add_f64_e32 v[196:197], v[16:17], v[254:255]
	s_delay_alu instid0(VALU_DEP_4) | instskip(NEXT) | instid1(VALU_DEP_4)
	v_fma_f64 v[12:13], v[12:13], -0.5, v[198:199]
	v_add_f64_e32 v[198:199], v[14:15], v[39:40]
	v_add_f64_e64 v[14:15], v[248:249], -v[254:255]
	v_fma_f64 v[200:201], v[18:19], s[0:1], v[10:11]
	v_fma_f64 v[204:205], v[18:19], s[2:3], v[10:11]
	s_delay_alu instid0(VALU_DEP_3)
	v_fma_f64 v[202:203], v[14:15], s[2:3], v[12:13]
	v_fma_f64 v[206:207], v[14:15], s[0:1], v[12:13]
	ds_store_b128 v4, v[0:3]
	ds_store_b128 v4, v[216:219] offset:880
	ds_store_b128 v4, v[228:231] offset:1760
	;; [unrolled: 1-line block ×14, first 2 shown]
	global_wb scope:SCOPE_SE
	s_wait_dscnt 0x0
	s_barrier_signal -1
	s_barrier_wait -1
	global_inv scope:SCOPE_SE
	global_load_b128 v[0:3], v[252:253], off offset:13200
	ds_load_b128 v[208:211], v4
	ds_load_b128 v[212:215], v4 offset:1200
	s_add_nc_u64 s[0:1], s[12:13], 0x3390
	ds_load_b128 v[216:219], v4 offset:12000
	s_wait_loadcnt_dscnt 0x2
	v_mul_f64_e32 v[10:11], v[210:211], v[2:3]
	v_mul_f64_e32 v[2:3], v[208:209], v[2:3]
	s_delay_alu instid0(VALU_DEP_2) | instskip(NEXT) | instid1(VALU_DEP_2)
	v_fma_f64 v[208:209], v[208:209], v[0:1], -v[10:11]
	v_fma_f64 v[210:211], v[210:211], v[0:1], v[2:3]
	global_load_b128 v[0:3], v4, s[0:1] offset:1200
	s_wait_loadcnt_dscnt 0x1
	v_mul_f64_e32 v[10:11], v[214:215], v[2:3]
	v_mul_f64_e32 v[2:3], v[212:213], v[2:3]
	s_delay_alu instid0(VALU_DEP_2) | instskip(NEXT) | instid1(VALU_DEP_2)
	v_fma_f64 v[212:213], v[212:213], v[0:1], -v[10:11]
	v_fma_f64 v[214:215], v[214:215], v[0:1], v[2:3]
	s_clause 0x1
	global_load_b128 v[0:3], v4, s[0:1] offset:2400
	global_load_b128 v[220:223], v4, s[0:1] offset:3600
	ds_load_b128 v[224:227], v4 offset:2400
	ds_load_b128 v[228:231], v4 offset:3600
	s_wait_loadcnt_dscnt 0x101
	v_mul_f64_e32 v[10:11], v[226:227], v[2:3]
	v_mul_f64_e32 v[2:3], v[224:225], v[2:3]
	s_delay_alu instid0(VALU_DEP_2) | instskip(NEXT) | instid1(VALU_DEP_2)
	v_fma_f64 v[224:225], v[224:225], v[0:1], -v[10:11]
	v_fma_f64 v[226:227], v[226:227], v[0:1], v[2:3]
	s_wait_loadcnt_dscnt 0x0
	v_mul_f64_e32 v[0:1], v[230:231], v[222:223]
	v_mul_f64_e32 v[2:3], v[228:229], v[222:223]
	s_delay_alu instid0(VALU_DEP_2) | instskip(NEXT) | instid1(VALU_DEP_2)
	v_fma_f64 v[0:1], v[228:229], v[220:221], -v[0:1]
	v_fma_f64 v[2:3], v[230:231], v[220:221], v[2:3]
	s_clause 0x1
	global_load_b128 v[220:223], v4, s[0:1] offset:4800
	global_load_b128 v[228:231], v4, s[0:1] offset:6000
	ds_load_b128 v[232:235], v4 offset:4800
	ds_load_b128 v[236:239], v4 offset:6000
	s_wait_loadcnt_dscnt 0x101
	v_mul_f64_e32 v[10:11], v[234:235], v[222:223]
	v_mul_f64_e32 v[12:13], v[232:233], v[222:223]
	s_delay_alu instid0(VALU_DEP_2) | instskip(NEXT) | instid1(VALU_DEP_2)
	v_fma_f64 v[232:233], v[232:233], v[220:221], -v[10:11]
	v_fma_f64 v[234:235], v[234:235], v[220:221], v[12:13]
	;; [unrolled: 17-line block ×4, first 2 shown]
	global_load_b128 v[236:239], v4, s[0:1] offset:12000
	s_wait_loadcnt_dscnt 0x100
	v_mul_f64_e32 v[14:15], v[12:13], v[246:247]
	v_mul_f64_e32 v[16:17], v[10:11], v[246:247]
	s_delay_alu instid0(VALU_DEP_2) | instskip(NEXT) | instid1(VALU_DEP_2)
	v_fma_f64 v[10:11], v[10:11], v[244:245], -v[14:15]
	v_fma_f64 v[12:13], v[12:13], v[244:245], v[16:17]
	s_wait_loadcnt 0x0
	v_mul_f64_e32 v[14:15], v[218:219], v[238:239]
	v_mul_f64_e32 v[16:17], v[216:217], v[238:239]
	s_delay_alu instid0(VALU_DEP_2) | instskip(NEXT) | instid1(VALU_DEP_2)
	v_fma_f64 v[216:217], v[216:217], v[236:237], -v[14:15]
	v_fma_f64 v[218:219], v[218:219], v[236:237], v[16:17]
	ds_store_b128 v4, v[208:211]
	ds_store_b128 v4, v[212:215] offset:1200
	ds_store_b128 v4, v[224:227] offset:2400
	;; [unrolled: 1-line block ×10, first 2 shown]
	s_and_saveexec_b32 s2, vcc_lo
	s_cbranch_execz .LBB0_9
; %bb.8:
	s_wait_alu 0xfffe
	v_add_co_u32 v16, s0, s0, v4
	s_wait_alu 0xf1ff
	v_add_co_ci_u32_e64 v17, null, s1, 0, s0
	s_clause 0x5
	global_load_b128 v[0:3], v[16:17], off offset:880
	global_load_b128 v[10:13], v[16:17], off offset:2080
	;; [unrolled: 1-line block ×6, first 2 shown]
	ds_load_b128 v[224:227], v4 offset:880
	ds_load_b128 v[228:231], v4 offset:2080
	s_wait_loadcnt_dscnt 0x501
	v_mul_f64_e32 v[14:15], v[226:227], v[2:3]
	v_mul_f64_e32 v[2:3], v[224:225], v[2:3]
	s_wait_loadcnt_dscnt 0x400
	v_mul_f64_e32 v[18:19], v[230:231], v[12:13]
	s_delay_alu instid0(VALU_DEP_3) | instskip(SKIP_1) | instid1(VALU_DEP_4)
	v_fma_f64 v[224:225], v[224:225], v[0:1], -v[14:15]
	v_mul_f64_e32 v[14:15], v[228:229], v[12:13]
	v_fma_f64 v[226:227], v[226:227], v[0:1], v[2:3]
	ds_load_b128 v[0:3], v4 offset:3280
	v_fma_f64 v[12:13], v[228:229], v[10:11], -v[18:19]
	v_fma_f64 v[14:15], v[230:231], v[10:11], v[14:15]
	ds_load_b128 v[228:231], v4 offset:4480
	s_wait_loadcnt_dscnt 0x301
	v_mul_f64_e32 v[10:11], v[2:3], v[210:211]
	v_mul_f64_e32 v[18:19], v[0:1], v[210:211]
	s_wait_loadcnt_dscnt 0x200
	v_mul_f64_e32 v[20:21], v[230:231], v[214:215]
	s_delay_alu instid0(VALU_DEP_3) | instskip(SKIP_1) | instid1(VALU_DEP_4)
	v_fma_f64 v[0:1], v[0:1], v[208:209], -v[10:11]
	v_mul_f64_e32 v[10:11], v[228:229], v[214:215]
	v_fma_f64 v[2:3], v[2:3], v[208:209], v[18:19]
	ds_load_b128 v[208:211], v4 offset:5680
	v_fma_f64 v[228:229], v[228:229], v[212:213], -v[20:21]
	v_fma_f64 v[230:231], v[230:231], v[212:213], v[10:11]
	ds_load_b128 v[212:215], v4 offset:6880
	s_wait_loadcnt_dscnt 0x101
	v_mul_f64_e32 v[10:11], v[210:211], v[218:219]
	v_mul_f64_e32 v[18:19], v[208:209], v[218:219]
	s_wait_loadcnt_dscnt 0x0
	v_mul_f64_e32 v[20:21], v[214:215], v[222:223]
	s_delay_alu instid0(VALU_DEP_3) | instskip(NEXT) | instid1(VALU_DEP_3)
	v_fma_f64 v[208:209], v[208:209], v[216:217], -v[10:11]
	v_fma_f64 v[210:211], v[210:211], v[216:217], v[18:19]
	global_load_b128 v[216:219], v[16:17], off offset:8080
	v_mul_f64_e32 v[10:11], v[212:213], v[222:223]
	v_fma_f64 v[212:213], v[212:213], v[220:221], -v[20:21]
	s_delay_alu instid0(VALU_DEP_2)
	v_fma_f64 v[214:215], v[214:215], v[220:221], v[10:11]
	global_load_b128 v[220:223], v[16:17], off offset:9280
	ds_load_b128 v[232:235], v4 offset:8080
	ds_load_b128 v[236:239], v4 offset:9280
	s_wait_loadcnt_dscnt 0x101
	v_mul_f64_e32 v[10:11], v[234:235], v[218:219]
	v_mul_f64_e32 v[18:19], v[232:233], v[218:219]
	s_delay_alu instid0(VALU_DEP_2) | instskip(NEXT) | instid1(VALU_DEP_2)
	v_fma_f64 v[232:233], v[232:233], v[216:217], -v[10:11]
	v_fma_f64 v[234:235], v[234:235], v[216:217], v[18:19]
	s_wait_loadcnt_dscnt 0x0
	v_mul_f64_e32 v[10:11], v[238:239], v[222:223]
	v_mul_f64_e32 v[18:19], v[236:237], v[222:223]
	s_delay_alu instid0(VALU_DEP_2) | instskip(NEXT) | instid1(VALU_DEP_2)
	v_fma_f64 v[216:217], v[236:237], v[220:221], -v[10:11]
	v_fma_f64 v[218:219], v[238:239], v[220:221], v[18:19]
	s_clause 0x1
	global_load_b128 v[220:223], v[16:17], off offset:10480
	global_load_b128 v[236:239], v[16:17], off offset:11680
	ds_load_b128 v[240:243], v4 offset:10480
	ds_load_b128 v[244:247], v4 offset:11680
	s_wait_loadcnt_dscnt 0x101
	v_mul_f64_e32 v[10:11], v[242:243], v[222:223]
	v_mul_f64_e32 v[18:19], v[240:241], v[222:223]
	s_delay_alu instid0(VALU_DEP_2) | instskip(NEXT) | instid1(VALU_DEP_2)
	v_fma_f64 v[240:241], v[240:241], v[220:221], -v[10:11]
	v_fma_f64 v[242:243], v[242:243], v[220:221], v[18:19]
	s_wait_loadcnt_dscnt 0x0
	v_mul_f64_e32 v[10:11], v[246:247], v[238:239]
	v_mul_f64_e32 v[18:19], v[244:245], v[238:239]
	s_delay_alu instid0(VALU_DEP_2) | instskip(NEXT) | instid1(VALU_DEP_2)
	v_fma_f64 v[220:221], v[244:245], v[236:237], -v[10:11]
	v_fma_f64 v[222:223], v[246:247], v[236:237], v[18:19]
	global_load_b128 v[236:239], v[16:17], off offset:12880
	ds_load_b128 v[244:247], v4 offset:12880
	s_wait_loadcnt_dscnt 0x0
	v_mul_f64_e32 v[10:11], v[246:247], v[238:239]
	v_mul_f64_e32 v[16:17], v[244:245], v[238:239]
	s_delay_alu instid0(VALU_DEP_2) | instskip(NEXT) | instid1(VALU_DEP_2)
	v_fma_f64 v[244:245], v[244:245], v[236:237], -v[10:11]
	v_fma_f64 v[246:247], v[246:247], v[236:237], v[16:17]
	ds_store_b128 v4, v[224:227] offset:880
	ds_store_b128 v4, v[12:15] offset:2080
	;; [unrolled: 1-line block ×11, first 2 shown]
.LBB0_9:
	s_wait_alu 0xfffe
	s_or_b32 exec_lo, exec_lo, s2
	global_wb scope:SCOPE_SE
	s_wait_dscnt 0x0
	s_barrier_signal -1
	s_barrier_wait -1
	global_inv scope:SCOPE_SE
	ds_load_b128 v[208:211], v4
	ds_load_b128 v[212:215], v4 offset:1200
	ds_load_b128 v[216:219], v4 offset:2400
	;; [unrolled: 1-line block ×10, first 2 shown]
	s_and_saveexec_b32 s0, vcc_lo
	s_cbranch_execz .LBB0_11
; %bb.10:
	ds_load_b128 v[192:195], v4 offset:880
	ds_load_b128 v[196:199], v4 offset:2080
	;; [unrolled: 1-line block ×5, first 2 shown]
	s_wait_dscnt 0x0
	scratch_store_b128 off, v[0:3], off offset:52 ; 16-byte Folded Spill
	ds_load_b128 v[80:83], v4 offset:6880
	ds_load_b128 v[0:3], v4 offset:8080
	s_wait_dscnt 0x0
	scratch_store_b128 off, v[0:3], off offset:84 ; 16-byte Folded Spill
	ds_load_b128 v[0:3], v4 offset:9280
	s_wait_dscnt 0x0
	scratch_store_b128 off, v[0:3], off offset:68 ; 16-byte Folded Spill
	;; [unrolled: 3-line block ×5, first 2 shown]
.LBB0_11:
	s_wait_alu 0xfffe
	s_or_b32 exec_lo, exec_lo, s0
	s_wait_dscnt 0x9
	v_add_f64_e32 v[0:1], v[208:209], v[212:213]
	v_add_f64_e32 v[2:3], v[210:211], v[214:215]
	s_wait_dscnt 0x0
	v_add_f64_e64 v[10:11], v[214:215], -v[222:223]
	s_mov_b32 s16, 0xbb3a28a1
	s_mov_b32 s17, 0xbfe82f19
	v_add_f64_e32 v[12:13], v[212:213], v[220:221]
	v_add_f64_e32 v[14:15], v[214:215], v[222:223]
	s_mov_b32 s24, 0xf8bb580b
	s_mov_b32 s20, 0x8eee2c13
	;; [unrolled: 1-line block ×12, first 2 shown]
	v_add_f64_e32 v[38:39], v[230:231], v[234:235]
	v_add_f64_e64 v[40:41], v[230:231], -v[234:235]
	v_add_f64_e32 v[42:43], v[218:219], v[226:227]
	v_add_f64_e64 v[16:17], v[212:213], -v[220:221]
	s_mov_b32 s22, 0x8764f0ba
	s_mov_b32 s14, 0xd9c712b6
	;; [unrolled: 1-line block ×6, first 2 shown]
	s_wait_alu 0xfffe
	s_mov_b32 s34, s18
	v_add_f64_e32 v[254:255], v[248:249], v[244:245]
	s_mov_b32 s27, 0x3fed1bb4
	s_mov_b32 s37, 0x3fe82f19
	s_mov_b32 s29, 0x3fd207e7
	s_mov_b32 s30, s24
	s_mov_b32 s26, s20
	s_mov_b32 s36, s16
	s_mov_b32 s28, s12
	v_add_f64_e32 v[0:1], v[0:1], v[216:217]
	v_add_f64_e32 v[2:3], v[2:3], v[218:219]
	v_mul_f64_e32 v[20:21], s[16:17], v[10:11]
	v_mul_f64_e32 v[18:19], s[18:19], v[10:11]
	v_add_f64_e32 v[30:31], v[250:251], v[246:247]
	v_add_f64_e64 v[32:33], v[250:251], -v[246:247]
	v_add_f64_e32 v[34:35], v[238:239], v[242:243]
	v_add_f64_e64 v[36:37], v[238:239], -v[242:243]
	global_wb scope:SCOPE_SE
	s_wait_storecnt 0x0
	s_barrier_signal -1
	s_barrier_wait -1
	global_inv scope:SCOPE_SE
	v_add_f64_e32 v[0:1], v[0:1], v[228:229]
	v_add_f64_e32 v[2:3], v[2:3], v[230:231]
	;; [unrolled: 1-line block ×3, first 2 shown]
	v_add_f64_e64 v[216:217], v[216:217], -v[224:225]
	v_fma_f64 v[28:29], v[12:13], s[8:9], v[18:19]
	v_fma_f64 v[18:19], v[12:13], s[8:9], -v[18:19]
	v_mul_f64_e32 v[60:61], s[12:13], v[32:33]
	v_mul_f64_e32 v[62:63], s[0:1], v[30:31]
	v_add_f64_e32 v[0:1], v[0:1], v[236:237]
	v_add_f64_e32 v[2:3], v[2:3], v[238:239]
	;; [unrolled: 1-line block ×3, first 2 shown]
	v_add_f64_e64 v[228:229], v[228:229], -v[232:233]
	v_add_f64_e32 v[28:29], v[208:209], v[28:29]
	v_add_f64_e32 v[18:19], v[208:209], v[18:19]
	;; [unrolled: 1-line block ×4, first 2 shown]
	v_add_f64_e64 v[248:249], v[248:249], -v[244:245]
	s_delay_alu instid0(VALU_DEP_3) | instskip(NEXT) | instid1(VALU_DEP_3)
	v_add_f64_e32 v[0:1], v[0:1], v[244:245]
	v_add_f64_e32 v[2:3], v[2:3], v[246:247]
	v_add_f64_e32 v[244:245], v[236:237], v[240:241]
	v_add_f64_e64 v[236:237], v[236:237], -v[240:241]
	s_delay_alu instid0(VALU_DEP_4) | instskip(NEXT) | instid1(VALU_DEP_4)
	v_add_f64_e32 v[0:1], v[0:1], v[240:241]
	v_add_f64_e32 v[2:3], v[2:3], v[242:243]
	s_delay_alu instid0(VALU_DEP_2) | instskip(NEXT) | instid1(VALU_DEP_2)
	v_add_f64_e32 v[0:1], v[0:1], v[232:233]
	v_add_f64_e32 v[2:3], v[2:3], v[234:235]
	v_add_f64_e64 v[234:235], v[218:219], -v[226:227]
	v_fma_f64 v[218:219], v[12:13], s[2:3], v[20:21]
	v_fma_f64 v[20:21], v[12:13], s[2:3], -v[20:21]
	v_add_f64_e32 v[0:1], v[0:1], v[224:225]
	v_add_f64_e32 v[2:3], v[2:3], v[226:227]
	v_mul_f64_e32 v[224:225], s[2:3], v[14:15]
	v_add_f64_e32 v[8:9], v[208:209], v[218:219]
	v_mul_f64_e32 v[218:219], s[20:21], v[234:235]
	v_add_f64_e32 v[50:51], v[208:209], v[20:21]
	s_wait_alu 0xfffe
	v_mul_f64_e32 v[20:21], s[28:29], v[40:41]
	v_add_f64_e32 v[212:213], v[0:1], v[220:221]
	v_add_f64_e32 v[214:215], v[2:3], v[222:223]
	v_mul_f64_e32 v[0:1], s[24:25], v[10:11]
	v_mul_f64_e32 v[2:3], s[20:21], v[10:11]
	;; [unrolled: 1-line block ×4, first 2 shown]
	v_fma_f64 v[242:243], v[16:17], s[36:37], v[224:225]
	v_fma_f64 v[224:225], v[16:17], s[16:17], v[224:225]
	;; [unrolled: 1-line block ×3, first 2 shown]
	v_fma_f64 v[0:1], v[12:13], s[22:23], -v[0:1]
	v_fma_f64 v[24:25], v[12:13], s[14:15], v[2:3]
	v_fma_f64 v[26:27], v[12:13], s[14:15], -v[2:3]
	v_fma_f64 v[220:221], v[12:13], s[0:1], v[10:11]
	v_fma_f64 v[10:11], v[12:13], s[0:1], -v[10:11]
	v_mul_f64_e32 v[2:3], s[22:23], v[14:15]
	v_mul_f64_e32 v[12:13], s[14:15], v[14:15]
	;; [unrolled: 1-line block ×3, first 2 shown]
	v_fma_f64 v[240:241], v[16:17], s[34:35], v[222:223]
	v_fma_f64 v[222:223], v[16:17], s[18:19], v[222:223]
	v_add_f64_e32 v[52:53], v[210:211], v[224:225]
	v_mul_f64_e32 v[224:225], s[8:9], v[38:39]
	v_add_f64_e32 v[48:49], v[210:211], v[242:243]
	v_add_f64_e32 v[0:1], v[208:209], v[0:1]
	;; [unrolled: 1-line block ×6, first 2 shown]
	v_fma_f64 v[226:227], v[16:17], s[30:31], v[2:3]
	v_fma_f64 v[2:3], v[16:17], s[24:25], v[2:3]
	;; [unrolled: 1-line block ×6, first 2 shown]
	v_add_f64_e32 v[16:17], v[208:209], v[22:23]
	v_add_f64_e32 v[46:47], v[210:211], v[222:223]
	v_fma_f64 v[10:11], v[230:231], s[14:15], v[218:219]
	v_mul_f64_e32 v[220:221], s[14:15], v[42:43]
	v_mul_f64_e32 v[222:223], s[18:19], v[40:41]
	v_add_f64_e32 v[44:45], v[210:211], v[240:241]
	v_add_f64_e32 v[22:23], v[210:211], v[226:227]
	v_mul_f64_e32 v[226:227], s[16:17], v[36:37]
	v_add_f64_e32 v[250:251], v[210:211], v[232:233]
	v_add_f64_e32 v[5:6], v[210:211], v[12:13]
	v_mul_f64_e32 v[232:233], s[2:3], v[34:35]
	v_add_f64_e32 v[58:59], v[210:211], v[14:15]
	v_add_f64_e32 v[2:3], v[210:211], v[2:3]
	v_add_f64_e32 v[246:247], v[210:211], v[246:247]
	v_add_f64_e32 v[10:11], v[10:11], v[16:17]
	v_fma_f64 v[12:13], v[216:217], s[26:27], v[220:221]
	v_fma_f64 v[14:15], v[238:239], s[8:9], v[222:223]
	v_mul_f64_e32 v[16:17], s[2:3], v[42:43]
	s_delay_alu instid0(VALU_DEP_3) | instskip(NEXT) | instid1(VALU_DEP_3)
	v_add_f64_e32 v[12:13], v[12:13], v[22:23]
	v_add_f64_e32 v[10:11], v[14:15], v[10:11]
	v_fma_f64 v[14:15], v[228:229], s[34:35], v[224:225]
	v_fma_f64 v[22:23], v[238:239], s[0:1], v[20:21]
	s_delay_alu instid0(VALU_DEP_2) | instskip(SKIP_1) | instid1(VALU_DEP_1)
	v_add_f64_e32 v[12:13], v[14:15], v[12:13]
	v_fma_f64 v[14:15], v[244:245], s[2:3], v[226:227]
	v_add_f64_e32 v[10:11], v[14:15], v[10:11]
	v_fma_f64 v[14:15], v[236:237], s[36:37], v[232:233]
	s_delay_alu instid0(VALU_DEP_1) | instskip(SKIP_1) | instid1(VALU_DEP_1)
	v_add_f64_e32 v[12:13], v[14:15], v[12:13]
	v_fma_f64 v[14:15], v[254:255], s[0:1], v[60:61]
	v_add_f64_e32 v[208:209], v[14:15], v[10:11]
	v_fma_f64 v[10:11], v[248:249], s[28:29], v[62:63]
	v_mul_f64_e32 v[14:15], s[16:17], v[234:235]
	s_delay_alu instid0(VALU_DEP_2) | instskip(NEXT) | instid1(VALU_DEP_2)
	v_add_f64_e32 v[210:211], v[10:11], v[12:13]
	v_fma_f64 v[10:11], v[230:231], s[2:3], v[14:15]
	v_fma_f64 v[12:13], v[216:217], s[36:37], v[16:17]
	v_fma_f64 v[14:15], v[230:231], s[2:3], -v[14:15]
	v_fma_f64 v[16:17], v[216:217], s[16:17], v[16:17]
	s_delay_alu instid0(VALU_DEP_4) | instskip(NEXT) | instid1(VALU_DEP_4)
	v_add_f64_e32 v[10:11], v[10:11], v[24:25]
	v_add_f64_e32 v[12:13], v[12:13], v[250:251]
	s_delay_alu instid0(VALU_DEP_4) | instskip(NEXT) | instid1(VALU_DEP_4)
	v_add_f64_e32 v[14:15], v[14:15], v[26:27]
	v_add_f64_e32 v[5:6], v[16:17], v[5:6]
	v_fma_f64 v[16:17], v[238:239], s[0:1], -v[20:21]
	v_add_f64_e32 v[10:11], v[22:23], v[10:11]
	v_mul_f64_e32 v[22:23], s[0:1], v[38:39]
	s_delay_alu instid0(VALU_DEP_3) | instskip(NEXT) | instid1(VALU_DEP_2)
	v_add_f64_e32 v[14:15], v[16:17], v[14:15]
	v_fma_f64 v[24:25], v[228:229], s[12:13], v[22:23]
	v_fma_f64 v[16:17], v[228:229], s[28:29], v[22:23]
	v_mul_f64_e32 v[22:23], s[26:27], v[40:41]
	s_delay_alu instid0(VALU_DEP_3) | instskip(SKIP_1) | instid1(VALU_DEP_4)
	v_add_f64_e32 v[12:13], v[24:25], v[12:13]
	v_mul_f64_e32 v[24:25], s[34:35], v[36:37]
	v_add_f64_e32 v[5:6], v[16:17], v[5:6]
	s_delay_alu instid0(VALU_DEP_2) | instskip(SKIP_2) | instid1(VALU_DEP_3)
	v_fma_f64 v[240:241], v[244:245], s[8:9], v[24:25]
	v_fma_f64 v[16:17], v[244:245], s[8:9], -v[24:25]
	v_fma_f64 v[24:25], v[238:239], s[14:15], v[22:23]
	v_add_f64_e32 v[10:11], v[240:241], v[10:11]
	v_mul_f64_e32 v[240:241], s[8:9], v[34:35]
	s_delay_alu instid0(VALU_DEP_4) | instskip(NEXT) | instid1(VALU_DEP_2)
	v_add_f64_e32 v[14:15], v[16:17], v[14:15]
	v_fma_f64 v[242:243], v[236:237], s[18:19], v[240:241]
	v_fma_f64 v[16:17], v[236:237], s[34:35], v[240:241]
	s_delay_alu instid0(VALU_DEP_2) | instskip(SKIP_1) | instid1(VALU_DEP_3)
	v_add_f64_e32 v[12:13], v[242:243], v[12:13]
	v_mul_f64_e32 v[242:243], s[30:31], v[32:33]
	v_add_f64_e32 v[5:6], v[16:17], v[5:6]
	s_delay_alu instid0(VALU_DEP_2) | instskip(SKIP_1) | instid1(VALU_DEP_2)
	v_fma_f64 v[250:251], v[254:255], s[22:23], v[242:243]
	v_fma_f64 v[16:17], v[254:255], s[22:23], -v[242:243]
	v_add_f64_e32 v[10:11], v[250:251], v[10:11]
	v_mul_f64_e32 v[250:251], s[22:23], v[30:31]
	s_delay_alu instid0(VALU_DEP_3) | instskip(NEXT) | instid1(VALU_DEP_2)
	v_add_f64_e32 v[240:241], v[16:17], v[14:15]
	v_fma_f64 v[20:21], v[248:249], s[30:31], v[250:251]
	v_fma_f64 v[76:77], v[248:249], s[24:25], v[250:251]
	s_delay_alu instid0(VALU_DEP_2) | instskip(SKIP_2) | instid1(VALU_DEP_4)
	v_add_f64_e32 v[242:243], v[20:21], v[5:6]
	v_mul_f64_e32 v[5:6], s[28:29], v[234:235]
	v_mul_f64_e32 v[20:21], s[0:1], v[42:43]
	v_add_f64_e32 v[12:13], v[76:77], v[12:13]
	s_delay_alu instid0(VALU_DEP_3) | instskip(NEXT) | instid1(VALU_DEP_3)
	v_fma_f64 v[14:15], v[230:231], s[0:1], v[5:6]
	v_fma_f64 v[16:17], v[216:217], s[12:13], v[20:21]
	v_fma_f64 v[5:6], v[230:231], s[0:1], -v[5:6]
	s_delay_alu instid0(VALU_DEP_3) | instskip(NEXT) | instid1(VALU_DEP_3)
	v_add_f64_e32 v[14:15], v[14:15], v[28:29]
	v_add_f64_e32 v[16:17], v[16:17], v[44:45]
	s_delay_alu instid0(VALU_DEP_3) | instskip(SKIP_4) | instid1(VALU_DEP_4)
	v_add_f64_e32 v[5:6], v[5:6], v[18:19]
	v_fma_f64 v[18:19], v[216:217], s[28:29], v[20:21]
	v_fma_f64 v[20:21], v[238:239], s[14:15], -v[22:23]
	v_add_f64_e32 v[14:15], v[24:25], v[14:15]
	v_mul_f64_e32 v[24:25], s[14:15], v[38:39]
	v_add_f64_e32 v[18:19], v[18:19], v[46:47]
	s_delay_alu instid0(VALU_DEP_4) | instskip(SKIP_1) | instid1(VALU_DEP_4)
	v_add_f64_e32 v[5:6], v[20:21], v[5:6]
	v_mul_f64_e32 v[46:47], s[12:13], v[36:37]
	v_fma_f64 v[26:27], v[228:229], s[20:21], v[24:25]
	v_fma_f64 v[20:21], v[228:229], s[26:27], v[24:25]
	s_delay_alu instid0(VALU_DEP_2) | instskip(SKIP_1) | instid1(VALU_DEP_3)
	v_add_f64_e32 v[16:17], v[26:27], v[16:17]
	v_mul_f64_e32 v[26:27], s[24:25], v[36:37]
	v_add_f64_e32 v[18:19], v[20:21], v[18:19]
	v_mul_f64_e32 v[36:37], s[26:27], v[36:37]
	s_delay_alu instid0(VALU_DEP_3) | instskip(SKIP_3) | instid1(VALU_DEP_4)
	v_fma_f64 v[28:29], v[244:245], s[22:23], v[26:27]
	v_fma_f64 v[20:21], v[244:245], s[22:23], -v[26:27]
	v_mul_f64_e32 v[26:27], s[8:9], v[42:43]
	v_mul_f64_e32 v[42:43], s[22:23], v[42:43]
	v_add_f64_e32 v[14:15], v[28:29], v[14:15]
	v_mul_f64_e32 v[28:29], s[22:23], v[34:35]
	v_add_f64_e32 v[5:6], v[20:21], v[5:6]
	s_delay_alu instid0(VALU_DEP_2) | instskip(SKIP_3) | instid1(VALU_DEP_4)
	v_fma_f64 v[44:45], v[236:237], s[30:31], v[28:29]
	v_fma_f64 v[20:21], v[236:237], s[24:25], v[28:29]
	v_mul_f64_e32 v[28:29], s[24:25], v[40:41]
	v_mul_f64_e32 v[40:41], s[16:17], v[40:41]
	v_add_f64_e32 v[16:17], v[44:45], v[16:17]
	v_mul_f64_e32 v[44:45], s[16:17], v[32:33]
	v_add_f64_e32 v[20:21], v[20:21], v[18:19]
	v_fma_f64 v[24:25], v[238:239], s[22:23], v[28:29]
	v_fma_f64 v[28:29], v[238:239], s[22:23], -v[28:29]
	s_delay_alu instid0(VALU_DEP_4) | instskip(SKIP_3) | instid1(VALU_DEP_4)
	v_fma_f64 v[76:77], v[254:255], s[2:3], v[44:45]
	v_fma_f64 v[18:19], v[254:255], s[2:3], -v[44:45]
	v_mul_f64_e32 v[44:45], s[22:23], v[38:39]
	v_mul_f64_e32 v[38:39], s[2:3], v[38:39]
	v_add_f64_e32 v[14:15], v[76:77], v[14:15]
	v_mul_f64_e32 v[76:77], s[2:3], v[30:31]
	v_add_f64_e32 v[18:19], v[18:19], v[5:6]
	v_mul_f64_e32 v[5:6], s[34:35], v[234:235]
	s_delay_alu instid0(VALU_DEP_3) | instskip(SKIP_2) | instid1(VALU_DEP_3)
	v_fma_f64 v[22:23], v[248:249], s[16:17], v[76:77]
	v_fma_f64 v[78:79], v[248:249], s[36:37], v[76:77]
	v_mul_f64_e32 v[76:77], s[26:27], v[32:33]
	v_add_f64_e32 v[20:21], v[22:23], v[20:21]
	v_fma_f64 v[22:23], v[230:231], s[8:9], v[5:6]
	v_fma_f64 v[5:6], v[230:231], s[8:9], -v[5:6]
	v_add_f64_e32 v[16:17], v[78:79], v[16:17]
	s_delay_alu instid0(VALU_DEP_3) | instskip(SKIP_1) | instid1(VALU_DEP_4)
	v_add_f64_e32 v[8:9], v[22:23], v[8:9]
	v_fma_f64 v[22:23], v[216:217], s[18:19], v[26:27]
	v_add_f64_e32 v[5:6], v[5:6], v[50:51]
	v_fma_f64 v[26:27], v[216:217], s[34:35], v[26:27]
	s_delay_alu instid0(VALU_DEP_4) | instskip(NEXT) | instid1(VALU_DEP_4)
	v_add_f64_e32 v[8:9], v[24:25], v[8:9]
	v_add_f64_e32 v[22:23], v[22:23], v[48:49]
	v_fma_f64 v[24:25], v[228:229], s[30:31], v[44:45]
	v_mul_f64_e32 v[48:49], s[0:1], v[34:35]
	v_add_f64_e32 v[26:27], v[26:27], v[52:53]
	v_add_f64_e32 v[5:6], v[28:29], v[5:6]
	v_fma_f64 v[28:29], v[228:229], s[24:25], v[44:45]
	v_fma_f64 v[44:45], v[216:217], s[24:25], v[42:43]
	v_mul_f64_e32 v[34:35], s[14:15], v[34:35]
	v_add_f64_e32 v[22:23], v[24:25], v[22:23]
	v_fma_f64 v[24:25], v[244:245], s[0:1], v[46:47]
	v_add_f64_e32 v[26:27], v[28:29], v[26:27]
	v_fma_f64 v[28:29], v[244:245], s[0:1], -v[46:47]
	v_fma_f64 v[46:47], v[238:239], s[2:3], v[40:41]
	v_add_f64_e32 v[44:45], v[44:45], v[246:247]
	v_fma_f64 v[40:41], v[238:239], s[2:3], -v[40:41]
	v_add_f64_e32 v[8:9], v[24:25], v[8:9]
	v_fma_f64 v[24:25], v[236:237], s[28:29], v[48:49]
	v_add_f64_e32 v[5:6], v[28:29], v[5:6]
	v_fma_f64 v[28:29], v[236:237], s[12:13], v[48:49]
	v_mul_f64_e32 v[48:49], s[8:9], v[30:31]
	s_delay_alu instid0(VALU_DEP_4) | instskip(SKIP_1) | instid1(VALU_DEP_4)
	v_add_f64_e32 v[24:25], v[24:25], v[22:23]
	v_fma_f64 v[22:23], v[254:255], s[14:15], v[76:77]
	v_add_f64_e32 v[28:29], v[28:29], v[26:27]
	v_fma_f64 v[26:27], v[254:255], s[14:15], -v[76:77]
	s_delay_alu instid0(VALU_DEP_3) | instskip(SKIP_1) | instid1(VALU_DEP_3)
	v_add_f64_e32 v[22:23], v[22:23], v[8:9]
	v_mul_f64_e32 v[8:9], s[14:15], v[30:31]
	v_add_f64_e32 v[26:27], v[26:27], v[5:6]
	v_mul_f64_e32 v[5:6], s[30:31], v[234:235]
	s_delay_alu instid0(VALU_DEP_3) | instskip(SKIP_1) | instid1(VALU_DEP_2)
	v_fma_f64 v[78:79], v[248:249], s[20:21], v[8:9]
	v_fma_f64 v[8:9], v[248:249], s[26:27], v[8:9]
	v_add_f64_e32 v[24:25], v[78:79], v[24:25]
	s_delay_alu instid0(VALU_DEP_2) | instskip(SKIP_2) | instid1(VALU_DEP_2)
	v_add_f64_e32 v[28:29], v[8:9], v[28:29]
	v_fma_f64 v[8:9], v[230:231], s[22:23], v[5:6]
	v_fma_f64 v[5:6], v[230:231], s[22:23], -v[5:6]
	v_add_f64_e32 v[8:9], v[8:9], v[54:55]
	s_delay_alu instid0(VALU_DEP_2) | instskip(NEXT) | instid1(VALU_DEP_2)
	v_add_f64_e32 v[5:6], v[5:6], v[56:57]
	v_add_f64_e32 v[8:9], v[46:47], v[8:9]
	v_fma_f64 v[46:47], v[228:229], s[36:37], v[38:39]
	v_fma_f64 v[38:39], v[228:229], s[16:17], v[38:39]
	s_delay_alu instid0(VALU_DEP_4) | instskip(SKIP_1) | instid1(VALU_DEP_4)
	v_add_f64_e32 v[5:6], v[40:41], v[5:6]
	v_fma_f64 v[40:41], v[228:229], s[18:19], v[224:225]
	v_add_f64_e32 v[44:45], v[46:47], v[44:45]
	v_fma_f64 v[46:47], v[244:245], s[14:15], v[36:37]
	v_fma_f64 v[36:37], v[244:245], s[14:15], -v[36:37]
	s_delay_alu instid0(VALU_DEP_2) | instskip(SKIP_2) | instid1(VALU_DEP_4)
	v_add_f64_e32 v[8:9], v[46:47], v[8:9]
	v_fma_f64 v[46:47], v[236:237], s[20:21], v[34:35]
	v_fma_f64 v[34:35], v[236:237], s[26:27], v[34:35]
	v_add_f64_e32 v[5:6], v[36:37], v[5:6]
	v_fma_f64 v[36:37], v[248:249], s[18:19], v[48:49]
	s_delay_alu instid0(VALU_DEP_4) | instskip(SKIP_1) | instid1(VALU_DEP_1)
	v_add_f64_e32 v[44:45], v[46:47], v[44:45]
	v_mul_f64_e32 v[46:47], s[18:19], v[32:33]
	v_fma_f64 v[30:31], v[254:255], s[8:9], v[46:47]
	s_delay_alu instid0(VALU_DEP_1) | instskip(SKIP_1) | instid1(VALU_DEP_1)
	v_add_f64_e32 v[30:31], v[30:31], v[8:9]
	v_fma_f64 v[8:9], v[248:249], s[34:35], v[48:49]
	v_add_f64_e32 v[32:33], v[8:9], v[44:45]
	v_fma_f64 v[8:9], v[216:217], s[30:31], v[42:43]
	s_delay_alu instid0(VALU_DEP_1) | instskip(NEXT) | instid1(VALU_DEP_1)
	v_add_f64_e32 v[8:9], v[8:9], v[58:59]
	v_add_f64_e32 v[8:9], v[38:39], v[8:9]
	v_fma_f64 v[38:39], v[238:239], s[8:9], -v[222:223]
	s_delay_alu instid0(VALU_DEP_2) | instskip(SKIP_1) | instid1(VALU_DEP_2)
	v_add_f64_e32 v[8:9], v[34:35], v[8:9]
	v_fma_f64 v[34:35], v[254:255], s[8:9], -v[46:47]
	v_add_f64_e32 v[36:37], v[36:37], v[8:9]
	s_delay_alu instid0(VALU_DEP_2) | instskip(SKIP_2) | instid1(VALU_DEP_2)
	v_add_f64_e32 v[34:35], v[34:35], v[5:6]
	v_fma_f64 v[5:6], v[230:231], s[14:15], -v[218:219]
	v_fma_f64 v[8:9], v[216:217], s[20:21], v[220:221]
	v_add_f64_e32 v[0:1], v[5:6], v[0:1]
	s_delay_alu instid0(VALU_DEP_2) | instskip(SKIP_2) | instid1(VALU_DEP_4)
	v_add_f64_e32 v[2:3], v[8:9], v[2:3]
	v_fma_f64 v[5:6], v[244:245], s[2:3], -v[226:227]
	v_fma_f64 v[8:9], v[236:237], s[16:17], v[232:233]
	v_add_f64_e32 v[0:1], v[38:39], v[0:1]
	s_delay_alu instid0(VALU_DEP_4) | instskip(SKIP_2) | instid1(VALU_DEP_4)
	v_add_f64_e32 v[2:3], v[40:41], v[2:3]
	v_fma_f64 v[38:39], v[254:255], s[0:1], -v[60:61]
	v_fma_f64 v[40:41], v[248:249], s[12:13], v[62:63]
	v_add_f64_e32 v[0:1], v[5:6], v[0:1]
	s_delay_alu instid0(VALU_DEP_4) | instskip(NEXT) | instid1(VALU_DEP_2)
	v_add_f64_e32 v[2:3], v[8:9], v[2:3]
	v_add_f64_e32 v[0:1], v[38:39], v[0:1]
	s_delay_alu instid0(VALU_DEP_2)
	v_add_f64_e32 v[2:3], v[40:41], v[2:3]
	ds_store_b128 v7, v[10:13] offset:32
	ds_store_b128 v7, v[14:17] offset:48
	;; [unrolled: 1-line block ×9, first 2 shown]
	ds_store_b128 v7, v[212:215]
	ds_store_b128 v7, v[0:3] offset:160
	s_and_saveexec_b32 s33, vcc_lo
	s_cbranch_execz .LBB0_13
; %bb.12:
	s_clause 0x1
	scratch_load_b128 v[9:12], off, off offset:52 th:TH_LOAD_LU
	scratch_load_b128 v[13:16], off, off offset:84 th:TH_LOAD_LU
	v_add_f64_e32 v[0:1], v[194:195], v[198:199]
	v_add_f64_e32 v[2:3], v[192:193], v[196:197]
	scratch_load_b128 v[19:22], off, off offset:4 th:TH_LOAD_LU ; 16-byte Folded Reload
	v_add_f64_e32 v[0:1], v[0:1], v[202:203]
	v_add_f64_e32 v[2:3], v[2:3], v[200:201]
	s_delay_alu instid0(VALU_DEP_2) | instskip(NEXT) | instid1(VALU_DEP_2)
	v_add_f64_e32 v[0:1], v[0:1], v[206:207]
	v_add_f64_e32 v[2:3], v[2:3], v[204:205]
	s_wait_loadcnt 0x2
	s_delay_alu instid0(VALU_DEP_2) | instskip(NEXT) | instid1(VALU_DEP_2)
	v_add_f64_e32 v[0:1], v[0:1], v[11:12]
	v_add_f64_e32 v[2:3], v[2:3], v[9:10]
	s_wait_loadcnt 0x1
	v_add_f64_e64 v[5:6], v[80:81], -v[13:14]
	v_add_f64_e64 v[7:8], v[82:83], -v[15:16]
	v_add_f64_e32 v[38:39], v[82:83], v[15:16]
	v_add_f64_e32 v[40:41], v[80:81], v[13:14]
	s_wait_loadcnt 0x0
	v_add_f64_e32 v[17:18], v[196:197], v[19:20]
	v_add_f64_e32 v[0:1], v[0:1], v[82:83]
	;; [unrolled: 1-line block ×3, first 2 shown]
	v_mul_f64_e32 v[214:215], s[18:19], v[5:6]
	v_mul_f64_e32 v[216:217], s[18:19], v[7:8]
	;; [unrolled: 1-line block ×6, first 2 shown]
	v_add_f64_e32 v[0:1], v[0:1], v[15:16]
	v_add_f64_e32 v[2:3], v[2:3], v[13:14]
	scratch_load_b128 v[13:16], off, off offset:68 th:TH_LOAD_LU ; 16-byte Folded Reload
	s_wait_loadcnt 0x0
	v_add_f64_e64 v[42:43], v[9:10], -v[13:14]
	v_add_f64_e64 v[48:49], v[11:12], -v[15:16]
	v_add_f64_e32 v[52:53], v[11:12], v[15:16]
	v_add_f64_e32 v[54:55], v[9:10], v[13:14]
	scratch_load_b128 v[9:12], off, off offset:36 th:TH_LOAD_LU ; 16-byte Folded Reload
	v_add_f64_e32 v[0:1], v[0:1], v[15:16]
	v_add_f64_e32 v[2:3], v[2:3], v[13:14]
	v_add_f64_e64 v[13:14], v[198:199], -v[21:22]
	v_add_f64_e32 v[15:16], v[198:199], v[21:22]
	s_delay_alu instid0(VALU_DEP_2) | instskip(SKIP_2) | instid1(VALU_DEP_2)
	v_mul_f64_e32 v[35:36], s[16:17], v[13:14]
	v_mul_f64_e32 v[44:45], s[18:19], v[13:14]
	;; [unrolled: 1-line block ×3, first 2 shown]
	v_fma_f64 v[198:199], v[17:18], s[8:9], v[44:45]
	v_fma_f64 v[44:45], v[17:18], s[8:9], -v[44:45]
	s_delay_alu instid0(VALU_DEP_2) | instskip(NEXT) | instid1(VALU_DEP_2)
	v_add_f64_e32 v[198:199], v[192:193], v[198:199]
	v_add_f64_e32 v[44:45], v[192:193], v[44:45]
	s_wait_loadcnt 0x0
	v_add_f64_e64 v[50:51], v[204:205], -v[9:10]
	v_add_f64_e64 v[56:57], v[206:207], -v[11:12]
	v_add_f64_e32 v[58:59], v[206:207], v[11:12]
	v_add_f64_e32 v[60:61], v[204:205], v[9:10]
	;; [unrolled: 1-line block ×4, first 2 shown]
	scratch_load_b128 v[9:12], off, off offset:20 th:TH_LOAD_LU ; 16-byte Folded Reload
	s_wait_loadcnt 0x0
	v_add_f64_e64 v[62:63], v[200:201], -v[9:10]
	v_add_f64_e64 v[76:77], v[202:203], -v[11:12]
	v_add_f64_e32 v[78:79], v[202:203], v[11:12]
	v_add_f64_e32 v[80:81], v[200:201], v[9:10]
	;; [unrolled: 1-line block ×4, first 2 shown]
	v_add_f64_e64 v[11:12], v[196:197], -v[19:20]
	v_fma_f64 v[196:197], v[17:18], s[2:3], -v[35:36]
	v_fma_f64 v[35:36], v[17:18], s[2:3], v[35:36]
	v_fma_f64 v[200:201], v[17:18], s[14:15], v[46:47]
	v_fma_f64 v[46:47], v[17:18], s[14:15], -v[46:47]
	v_add_f64_e32 v[2:3], v[0:1], v[21:22]
	v_add_f64_e32 v[0:1], v[9:10], v[19:20]
	v_mul_f64_e32 v[9:10], s[12:13], v[11:12]
	v_mul_f64_e32 v[19:20], s[16:17], v[11:12]
	;; [unrolled: 1-line block ×5, first 2 shown]
	v_add_f64_e32 v[196:197], v[192:193], v[196:197]
	v_add_f64_e32 v[35:36], v[192:193], v[35:36]
	;; [unrolled: 1-line block ×3, first 2 shown]
	v_fma_f64 v[25:26], v[15:16], s[0:1], v[9:10]
	v_fma_f64 v[9:10], v[15:16], s[0:1], -v[9:10]
	v_fma_f64 v[27:28], v[15:16], s[2:3], v[19:20]
	v_fma_f64 v[19:20], v[15:16], s[2:3], -v[19:20]
	;; [unrolled: 2-line block ×3, first 2 shown]
	v_fma_f64 v[31:32], v[15:16], s[14:15], -v[23:24]
	v_fma_f64 v[23:24], v[15:16], s[14:15], v[23:24]
	v_fma_f64 v[33:34], v[15:16], s[22:23], v[11:12]
	v_fma_f64 v[11:12], v[15:16], s[22:23], -v[11:12]
	v_mul_f64_e32 v[15:16], s[12:13], v[13:14]
	v_mul_f64_e32 v[13:14], s[24:25], v[13:14]
	v_add_f64_e32 v[27:28], v[194:195], v[27:28]
	v_add_f64_e32 v[204:205], v[194:195], v[19:20]
	v_mul_f64_e32 v[19:20], s[30:31], v[62:63]
	v_add_f64_e32 v[208:209], v[194:195], v[21:22]
	v_mul_f64_e32 v[21:22], s[16:17], v[50:51]
	v_add_f64_e32 v[206:207], v[194:195], v[29:30]
	v_add_f64_e32 v[29:30], v[194:195], v[31:32]
	v_add_f64_e32 v[31:32], v[192:193], v[200:201]
	v_fma_f64 v[82:83], v[17:18], s[0:1], -v[15:16]
	v_fma_f64 v[15:16], v[17:18], s[0:1], v[15:16]
	v_fma_f64 v[202:203], v[17:18], s[22:23], v[13:14]
	v_fma_f64 v[13:14], v[17:18], s[22:23], -v[13:14]
	v_add_f64_e32 v[17:18], v[194:195], v[25:26]
	v_add_f64_e32 v[200:201], v[194:195], v[23:24]
	;; [unrolled: 1-line block ×3, first 2 shown]
	v_mul_f64_e32 v[23:24], s[16:17], v[56:57]
	v_mul_f64_e32 v[33:34], s[26:27], v[48:49]
	v_add_f64_e32 v[25:26], v[192:193], v[82:83]
	v_add_f64_e32 v[82:83], v[194:195], v[9:10]
	v_fma_f64 v[9:10], v[78:79], s[22:23], v[19:20]
	v_add_f64_e32 v[15:16], v[192:193], v[15:16]
	v_add_f64_e32 v[194:195], v[194:195], v[11:12]
	v_add_f64_e32 v[202:203], v[192:193], v[202:203]
	v_add_f64_e32 v[192:193], v[192:193], v[13:14]
	v_fma_f64 v[13:14], v[58:59], s[2:3], v[21:22]
	v_fma_f64 v[19:20], v[78:79], s[22:23], -v[19:20]
	v_add_f64_e32 v[9:10], v[9:10], v[17:18]
	v_mul_f64_e32 v[17:18], s[30:31], v[76:77]
	s_delay_alu instid0(VALU_DEP_3) | instskip(NEXT) | instid1(VALU_DEP_3)
	v_add_f64_e32 v[19:20], v[19:20], v[82:83]
	v_add_f64_e32 v[9:10], v[13:14], v[9:10]
	s_delay_alu instid0(VALU_DEP_3) | instskip(SKIP_2) | instid1(VALU_DEP_3)
	v_fma_f64 v[11:12], v[80:81], s[22:23], -v[17:18]
	v_fma_f64 v[13:14], v[60:61], s[2:3], -v[23:24]
	v_fma_f64 v[17:18], v[80:81], s[22:23], v[17:18]
	v_add_f64_e32 v[11:12], v[11:12], v[25:26]
	v_mul_f64_e32 v[25:26], s[26:27], v[42:43]
	s_delay_alu instid0(VALU_DEP_2) | instskip(NEXT) | instid1(VALU_DEP_2)
	v_add_f64_e32 v[11:12], v[13:14], v[11:12]
	v_fma_f64 v[13:14], v[52:53], s[14:15], v[25:26]
	s_delay_alu instid0(VALU_DEP_1) | instskip(SKIP_1) | instid1(VALU_DEP_1)
	v_add_f64_e32 v[9:10], v[13:14], v[9:10]
	v_fma_f64 v[13:14], v[54:55], s[14:15], -v[33:34]
	v_add_f64_e32 v[212:213], v[13:14], v[11:12]
	v_add_f64_e32 v[14:15], v[17:18], v[15:16]
	v_fma_f64 v[16:17], v[58:59], s[2:3], -v[21:22]
	v_fma_f64 v[11:12], v[38:39], s[8:9], v[214:215]
	s_delay_alu instid0(VALU_DEP_2)
	v_add_f64_e32 v[16:17], v[16:17], v[19:20]
	v_fma_f64 v[18:19], v[60:61], s[2:3], v[23:24]
	v_mul_f64_e32 v[22:23], s[34:35], v[62:63]
	v_fma_f64 v[20:21], v[40:41], s[8:9], v[216:217]
	v_add_f64_e32 v[12:13], v[11:12], v[9:10]
	v_fma_f64 v[9:10], v[40:41], s[8:9], -v[216:217]
	v_mul_f64_e32 v[216:217], s[26:27], v[7:8]
	v_mul_f64_e32 v[7:8], s[12:13], v[7:8]
	v_add_f64_e32 v[14:15], v[18:19], v[14:15]
	v_fma_f64 v[18:19], v[52:53], s[14:15], -v[25:26]
	v_mul_f64_e32 v[24:25], s[34:35], v[76:77]
	v_add_f64_e32 v[10:11], v[9:10], v[212:213]
	s_delay_alu instid0(VALU_DEP_3) | instskip(SKIP_1) | instid1(VALU_DEP_1)
	v_add_f64_e32 v[16:17], v[18:19], v[16:17]
	v_fma_f64 v[18:19], v[54:55], s[14:15], v[33:34]
	v_add_f64_e32 v[14:15], v[18:19], v[14:15]
	v_fma_f64 v[18:19], v[38:39], s[8:9], -v[214:215]
	v_mul_f64_e32 v[214:215], s[26:27], v[5:6]
	v_mul_f64_e32 v[5:6], s[12:13], v[5:6]
	s_delay_alu instid0(VALU_DEP_4) | instskip(NEXT) | instid1(VALU_DEP_4)
	v_add_f64_e32 v[14:15], v[20:21], v[14:15]
	v_add_f64_e32 v[16:17], v[18:19], v[16:17]
	v_fma_f64 v[18:19], v[78:79], s[8:9], v[22:23]
	v_fma_f64 v[20:21], v[80:81], s[8:9], -v[24:25]
	v_fma_f64 v[22:23], v[78:79], s[8:9], -v[22:23]
	v_fma_f64 v[24:25], v[80:81], s[8:9], v[24:25]
	s_delay_alu instid0(VALU_DEP_4)
	v_add_f64_e32 v[18:19], v[18:19], v[27:28]
	v_mul_f64_e32 v[26:27], s[24:25], v[50:51]
	v_add_f64_e32 v[20:21], v[20:21], v[196:197]
	v_add_f64_e32 v[22:23], v[22:23], v[204:205]
	;; [unrolled: 1-line block ×3, first 2 shown]
	v_mul_f64_e32 v[204:205], s[28:29], v[50:51]
	v_mul_f64_e32 v[36:37], s[28:29], v[76:77]
	v_fma_f64 v[33:34], v[58:59], s[22:23], v[26:27]
	v_fma_f64 v[26:27], v[58:59], s[22:23], -v[26:27]
	s_delay_alu instid0(VALU_DEP_2) | instskip(SKIP_1) | instid1(VALU_DEP_3)
	v_add_f64_e32 v[18:19], v[33:34], v[18:19]
	v_mul_f64_e32 v[33:34], s[24:25], v[56:57]
	v_add_f64_e32 v[22:23], v[26:27], v[22:23]
	s_delay_alu instid0(VALU_DEP_2) | instskip(SKIP_2) | instid1(VALU_DEP_3)
	v_fma_f64 v[82:83], v[60:61], s[22:23], -v[33:34]
	v_fma_f64 v[26:27], v[60:61], s[22:23], v[33:34]
	v_fma_f64 v[33:34], v[40:41], s[14:15], v[216:217]
	v_add_f64_e32 v[20:21], v[82:83], v[20:21]
	v_mul_f64_e32 v[82:83], s[12:13], v[42:43]
	s_delay_alu instid0(VALU_DEP_4) | instskip(NEXT) | instid1(VALU_DEP_2)
	v_add_f64_e32 v[24:25], v[26:27], v[24:25]
	v_fma_f64 v[196:197], v[52:53], s[0:1], v[82:83]
	v_fma_f64 v[26:27], v[52:53], s[0:1], -v[82:83]
	v_mul_f64_e32 v[82:83], s[16:17], v[62:63]
	s_delay_alu instid0(VALU_DEP_3) | instskip(SKIP_1) | instid1(VALU_DEP_4)
	v_add_f64_e32 v[18:19], v[196:197], v[18:19]
	v_mul_f64_e32 v[196:197], s[12:13], v[48:49]
	v_add_f64_e32 v[22:23], v[26:27], v[22:23]
	s_delay_alu instid0(VALU_DEP_2) | instskip(SKIP_3) | instid1(VALU_DEP_4)
	v_fma_f64 v[26:27], v[54:55], s[0:1], v[196:197]
	v_fma_f64 v[212:213], v[54:55], s[0:1], -v[196:197]
	v_mul_f64_e32 v[196:197], s[16:17], v[76:77]
	v_mul_f64_e32 v[76:77], s[20:21], v[76:77]
	v_add_f64_e32 v[26:27], v[26:27], v[24:25]
	v_fma_f64 v[24:25], v[38:39], s[14:15], -v[214:215]
	v_add_f64_e32 v[212:213], v[212:213], v[20:21]
	v_fma_f64 v[20:21], v[38:39], s[14:15], v[214:215]
	v_mul_f64_e32 v[214:215], s[34:35], v[42:43]
	s_delay_alu instid0(VALU_DEP_4)
	v_add_f64_e32 v[24:25], v[24:25], v[22:23]
	v_add_f64_e32 v[22:23], v[33:34], v[26:27]
	v_fma_f64 v[26:27], v[78:79], s[2:3], -v[82:83]
	v_add_f64_e32 v[20:21], v[20:21], v[18:19]
	v_fma_f64 v[18:19], v[40:41], s[14:15], -v[216:217]
	v_mul_f64_e32 v[216:217], s[34:35], v[48:49]
	v_mul_f64_e32 v[34:35], s[28:29], v[62:63]
	;; [unrolled: 1-line block ×3, first 2 shown]
	v_add_f64_e32 v[26:27], v[26:27], v[29:30]
	v_fma_f64 v[28:29], v[80:81], s[2:3], v[196:197]
	v_add_f64_e32 v[18:19], v[18:19], v[212:213]
	v_mul_f64_e32 v[212:213], s[28:29], v[56:57]
	s_delay_alu instid0(VALU_DEP_3) | instskip(SKIP_3) | instid1(VALU_DEP_3)
	v_add_f64_e32 v[28:29], v[28:29], v[31:32]
	v_fma_f64 v[30:31], v[58:59], s[0:1], -v[204:205]
	v_fma_f64 v[32:33], v[80:81], s[0:1], v[36:37]
	v_fma_f64 v[36:37], v[80:81], s[0:1], -v[36:37]
	v_add_f64_e32 v[26:27], v[30:31], v[26:27]
	v_fma_f64 v[30:31], v[60:61], s[0:1], v[212:213]
	s_delay_alu instid0(VALU_DEP_4) | instskip(SKIP_2) | instid1(VALU_DEP_4)
	v_add_f64_e32 v[32:33], v[32:33], v[198:199]
	v_mul_f64_e32 v[198:199], s[26:27], v[50:51]
	v_add_f64_e32 v[36:37], v[36:37], v[44:45]
	v_add_f64_e32 v[28:29], v[30:31], v[28:29]
	v_fma_f64 v[30:31], v[52:53], s[8:9], -v[214:215]
	s_delay_alu instid0(VALU_DEP_4) | instskip(NEXT) | instid1(VALU_DEP_2)
	v_fma_f64 v[44:45], v[58:59], s[14:15], v[198:199]
	v_add_f64_e32 v[26:27], v[30:31], v[26:27]
	v_fma_f64 v[30:31], v[54:55], s[8:9], v[216:217]
	s_delay_alu instid0(VALU_DEP_1) | instskip(SKIP_1) | instid1(VALU_DEP_1)
	v_add_f64_e32 v[30:31], v[30:31], v[28:29]
	v_fma_f64 v[28:29], v[38:39], s[22:23], -v[218:219]
	v_add_f64_e32 v[28:29], v[28:29], v[26:27]
	v_fma_f64 v[26:27], v[40:41], s[22:23], v[220:221]
	s_delay_alu instid0(VALU_DEP_1) | instskip(SKIP_2) | instid1(VALU_DEP_2)
	v_add_f64_e32 v[26:27], v[26:27], v[30:31]
	v_fma_f64 v[30:31], v[78:79], s[0:1], -v[34:35]
	v_fma_f64 v[34:35], v[78:79], s[0:1], v[34:35]
	v_add_f64_e32 v[30:31], v[30:31], v[208:209]
	v_fma_f64 v[208:209], v[58:59], s[14:15], -v[198:199]
	s_delay_alu instid0(VALU_DEP_3) | instskip(SKIP_1) | instid1(VALU_DEP_3)
	v_add_f64_e32 v[34:35], v[34:35], v[206:207]
	v_fma_f64 v[198:199], v[40:41], s[2:3], -v[230:231]
	v_add_f64_e32 v[30:31], v[208:209], v[30:31]
	v_mul_f64_e32 v[208:209], s[26:27], v[56:57]
	s_delay_alu instid0(VALU_DEP_4) | instskip(SKIP_1) | instid1(VALU_DEP_3)
	v_add_f64_e32 v[34:35], v[44:45], v[34:35]
	v_mul_f64_e32 v[56:57], s[18:19], v[56:57]
	v_fma_f64 v[222:223], v[60:61], s[14:15], v[208:209]
	v_fma_f64 v[44:45], v[60:61], s[14:15], -v[208:209]
	s_delay_alu instid0(VALU_DEP_2) | instskip(SKIP_1) | instid1(VALU_DEP_3)
	v_add_f64_e32 v[32:33], v[222:223], v[32:33]
	v_mul_f64_e32 v[222:223], s[24:25], v[42:43]
	v_add_f64_e32 v[36:37], v[44:45], v[36:37]
	v_mul_f64_e32 v[42:43], s[16:17], v[42:43]
	s_delay_alu instid0(VALU_DEP_3) | instskip(SKIP_1) | instid1(VALU_DEP_2)
	v_fma_f64 v[224:225], v[52:53], s[22:23], -v[222:223]
	v_fma_f64 v[44:45], v[52:53], s[22:23], v[222:223]
	v_add_f64_e32 v[30:31], v[224:225], v[30:31]
	v_mul_f64_e32 v[224:225], s[24:25], v[48:49]
	s_delay_alu instid0(VALU_DEP_3) | instskip(NEXT) | instid1(VALU_DEP_2)
	v_add_f64_e32 v[34:35], v[44:45], v[34:35]
	v_fma_f64 v[44:45], v[54:55], s[22:23], -v[224:225]
	v_fma_f64 v[226:227], v[54:55], s[22:23], v[224:225]
	s_delay_alu instid0(VALU_DEP_2) | instskip(SKIP_1) | instid1(VALU_DEP_3)
	v_add_f64_e32 v[44:45], v[44:45], v[36:37]
	v_fma_f64 v[36:37], v[38:39], s[2:3], v[228:229]
	v_add_f64_e32 v[226:227], v[226:227], v[32:33]
	v_fma_f64 v[32:33], v[38:39], s[2:3], -v[228:229]
	s_delay_alu instid0(VALU_DEP_3)
	v_add_f64_e32 v[36:37], v[36:37], v[34:35]
	v_add_f64_e32 v[34:35], v[198:199], v[44:45]
	v_fma_f64 v[44:45], v[78:79], s[2:3], v[82:83]
	v_fma_f64 v[82:83], v[80:81], s[2:3], -v[196:197]
	v_fma_f64 v[196:197], v[40:41], s[22:23], -v[220:221]
	v_add_f64_e32 v[32:33], v[32:33], v[30:31]
	v_fma_f64 v[30:31], v[40:41], s[2:3], v[230:231]
	v_add_f64_e32 v[44:45], v[44:45], v[200:201]
	v_add_f64_e32 v[46:47], v[82:83], v[46:47]
	v_fma_f64 v[82:83], v[58:59], s[0:1], v[204:205]
	s_delay_alu instid0(VALU_DEP_4) | instskip(NEXT) | instid1(VALU_DEP_2)
	v_add_f64_e32 v[30:31], v[30:31], v[226:227]
	v_add_f64_e32 v[44:45], v[82:83], v[44:45]
	v_fma_f64 v[82:83], v[60:61], s[0:1], -v[212:213]
	s_delay_alu instid0(VALU_DEP_1) | instskip(SKIP_1) | instid1(VALU_DEP_1)
	v_add_f64_e32 v[46:47], v[82:83], v[46:47]
	v_fma_f64 v[82:83], v[52:53], s[8:9], v[214:215]
	v_add_f64_e32 v[44:45], v[82:83], v[44:45]
	v_fma_f64 v[82:83], v[54:55], s[8:9], -v[216:217]
	s_delay_alu instid0(VALU_DEP_1) | instskip(SKIP_1) | instid1(VALU_DEP_1)
	v_add_f64_e32 v[82:83], v[82:83], v[46:47]
	v_fma_f64 v[46:47], v[38:39], s[22:23], v[218:219]
	v_add_f64_e32 v[46:47], v[46:47], v[44:45]
	s_delay_alu instid0(VALU_DEP_3) | instskip(SKIP_3) | instid1(VALU_DEP_3)
	v_add_f64_e32 v[44:45], v[196:197], v[82:83]
	v_fma_f64 v[82:83], v[78:79], s[14:15], -v[62:63]
	v_mul_f64_e32 v[196:197], s[18:19], v[50:51]
	v_fma_f64 v[62:63], v[78:79], s[14:15], v[62:63]
	v_add_f64_e32 v[82:83], v[82:83], v[194:195]
	v_fma_f64 v[194:195], v[80:81], s[14:15], v[76:77]
	s_delay_alu instid0(VALU_DEP_4) | instskip(SKIP_2) | instid1(VALU_DEP_4)
	v_fma_f64 v[50:51], v[58:59], s[8:9], -v[196:197]
	v_fma_f64 v[58:59], v[58:59], s[8:9], v[196:197]
	v_fma_f64 v[76:77], v[80:81], s[14:15], -v[76:77]
	v_add_f64_e32 v[194:195], v[194:195], v[202:203]
	s_delay_alu instid0(VALU_DEP_4) | instskip(SKIP_4) | instid1(VALU_DEP_4)
	v_add_f64_e32 v[50:51], v[50:51], v[82:83]
	v_fma_f64 v[82:83], v[60:61], s[8:9], v[56:57]
	v_fma_f64 v[56:57], v[60:61], s[8:9], -v[56:57]
	v_add_f64_e32 v[60:61], v[62:63], v[210:211]
	v_add_f64_e32 v[62:63], v[76:77], v[192:193]
	;; [unrolled: 1-line block ×3, first 2 shown]
	v_fma_f64 v[194:195], v[52:53], s[2:3], -v[42:43]
	v_fma_f64 v[42:43], v[52:53], s[2:3], v[42:43]
	s_delay_alu instid0(VALU_DEP_4) | instskip(NEXT) | instid1(VALU_DEP_3)
	v_add_f64_e32 v[56:57], v[56:57], v[62:63]
	v_add_f64_e32 v[50:51], v[194:195], v[50:51]
	v_mul_f64_e32 v[194:195], s[16:17], v[48:49]
	s_delay_alu instid0(VALU_DEP_1) | instskip(SKIP_2) | instid1(VALU_DEP_3)
	v_fma_f64 v[48:49], v[54:55], s[2:3], v[194:195]
	v_fma_f64 v[52:53], v[54:55], s[2:3], -v[194:195]
	v_add_f64_e32 v[54:55], v[58:59], v[60:61]
	v_add_f64_e32 v[48:49], v[48:49], v[82:83]
	v_fma_f64 v[82:83], v[38:39], s[0:1], -v[5:6]
	v_fma_f64 v[5:6], v[38:39], s[0:1], v[5:6]
	s_delay_alu instid0(VALU_DEP_4) | instskip(NEXT) | instid1(VALU_DEP_3)
	v_add_f64_e32 v[38:39], v[42:43], v[54:55]
	v_add_f64_e32 v[50:51], v[82:83], v[50:51]
	v_fma_f64 v[82:83], v[40:41], s[0:1], v[7:8]
	s_delay_alu instid0(VALU_DEP_3) | instskip(SKIP_4) | instid1(VALU_DEP_2)
	v_add_f64_e32 v[54:55], v[5:6], v[38:39]
	scratch_load_b32 v5, off, off offset:300 th:TH_LOAD_LU ; 4-byte Folded Reload
	v_fma_f64 v[7:8], v[40:41], s[0:1], -v[7:8]
	v_add_f64_e32 v[40:41], v[52:53], v[56:57]
	v_add_f64_e32 v[48:49], v[82:83], v[48:49]
	;; [unrolled: 1-line block ×3, first 2 shown]
	s_wait_loadcnt 0x0
	v_lshlrev_b32_e32 v5, 4, v5
	ds_store_b128 v5, v[26:29] offset:32
	ds_store_b128 v5, v[30:33] offset:48
	;; [unrolled: 1-line block ×9, first 2 shown]
	ds_store_b128 v5, v[0:3]
	ds_store_b128 v5, v[52:55] offset:160
.LBB0_13:
	s_or_b32 exec_lo, exec_lo, s33
	global_wb scope:SCOPE_SE
	s_wait_dscnt 0x0
	s_barrier_signal -1
	s_barrier_wait -1
	global_inv scope:SCOPE_SE
	ds_load_b128 v[0:3], v4 offset:2640
	ds_load_b128 v[10:13], v4 offset:5280
	;; [unrolled: 1-line block ×13, first 2 shown]
	s_mov_b32 s0, 0x134454ff
	s_mov_b32 s1, 0xbfee6f0e
	;; [unrolled: 1-line block ×3, first 2 shown]
	s_wait_alu 0xfffe
	s_mov_b32 s2, s0
	s_mov_b32 s8, 0x4755a5e
	;; [unrolled: 1-line block ×4, first 2 shown]
	s_wait_alu 0xfffe
	s_mov_b32 s14, s8
	s_mov_b32 s12, 0x372fe950
	;; [unrolled: 1-line block ×3, first 2 shown]
	s_wait_dscnt 0xc
	v_mul_f64_e32 v[5:6], v[74:75], v[2:3]
	v_mul_f64_e32 v[7:8], v[74:75], v[0:1]
	s_wait_dscnt 0xb
	v_mul_f64_e32 v[38:39], v[70:71], v[12:13]
	v_mul_f64_e32 v[40:41], v[70:71], v[10:11]
	s_wait_dscnt 0xa
	v_mul_f64_e32 v[42:43], v[86:87], v[16:17]
	v_mul_f64_e32 v[70:71], v[86:87], v[14:15]
	s_wait_dscnt 0x7
	v_mul_f64_e32 v[74:75], v[66:67], v[28:29]
	v_mul_f64_e32 v[66:67], v[66:67], v[26:27]
	s_wait_dscnt 0x6
	v_mul_f64_e32 v[76:77], v[102:103], v[32:33]
	v_mul_f64_e32 v[78:79], v[102:103], v[30:31]
	v_mul_f64_e32 v[80:81], v[98:99], v[24:25]
	v_mul_f64_e32 v[82:83], v[98:99], v[22:23]
	s_wait_dscnt 0x4
	v_mul_f64_e32 v[86:87], v[110:111], v[46:47]
	v_mul_f64_e32 v[98:99], v[110:111], v[44:45]
	s_wait_dscnt 0x2
	v_mul_f64_e32 v[102:103], v[118:119], v[52:53]
	v_fma_f64 v[5:6], v[72:73], v[0:1], v[5:6]
	v_fma_f64 v[7:8], v[72:73], v[2:3], -v[7:8]
	v_mul_f64_e32 v[0:1], v[106:107], v[50:51]
	v_mul_f64_e32 v[2:3], v[106:107], v[48:49]
	;; [unrolled: 1-line block ×3, first 2 shown]
	v_fma_f64 v[38:39], v[68:69], v[10:11], v[38:39]
	v_fma_f64 v[40:41], v[68:69], v[12:13], -v[40:41]
	v_mul_f64_e32 v[9:10], v[114:115], v[36:37]
	v_mul_f64_e32 v[11:12], v[114:115], v[34:35]
	s_wait_dscnt 0x1
	v_mul_f64_e32 v[68:69], v[126:127], v[58:59]
	s_wait_dscnt 0x0
	v_mul_f64_e32 v[106:107], v[122:123], v[62:63]
	v_fma_f64 v[14:15], v[84:85], v[14:15], v[42:43]
	v_fma_f64 v[16:17], v[84:85], v[16:17], -v[70:71]
	v_mul_f64_e32 v[42:43], v[126:127], v[56:57]
	v_mul_f64_e32 v[70:71], v[122:123], v[60:61]
	v_fma_f64 v[26:27], v[64:65], v[26:27], v[74:75]
	v_fma_f64 v[28:29], v[64:65], v[28:29], -v[66:67]
	v_fma_f64 v[30:31], v[100:101], v[30:31], v[76:77]
	v_fma_f64 v[32:33], v[100:101], v[32:33], -v[78:79]
	;; [unrolled: 2-line block ×4, first 2 shown]
	v_fma_f64 v[54:55], v[116:117], v[54:55], -v[102:103]
	v_fma_f64 v[48:49], v[104:105], v[48:49], v[0:1]
	v_fma_f64 v[50:51], v[104:105], v[50:51], -v[2:3]
	ds_load_b128 v[0:3], v4
	v_fma_f64 v[52:53], v[116:117], v[52:53], v[72:73]
	v_add_f64_e64 v[96:97], v[5:6], -v[38:39]
	v_fma_f64 v[34:35], v[112:113], v[34:35], v[9:10]
	v_fma_f64 v[36:37], v[112:113], v[36:37], -v[11:12]
	ds_load_b128 v[10:13], v4 offset:880
	v_fma_f64 v[56:57], v[124:125], v[56:57], v[68:69]
	v_fma_f64 v[60:61], v[120:121], v[60:61], v[106:107]
	v_add_f64_e32 v[66:67], v[40:41], v[16:17]
	v_fma_f64 v[42:43], v[124:125], v[58:59], -v[42:43]
	v_fma_f64 v[58:59], v[120:121], v[62:63], -v[70:71]
	v_add_f64_e32 v[62:63], v[38:39], v[14:15]
	v_add_f64_e32 v[64:65], v[5:6], v[26:27]
	;; [unrolled: 1-line block ×3, first 2 shown]
	v_add_f64_e64 v[98:99], v[26:27], -v[14:15]
	v_add_f64_e64 v[100:101], v[38:39], -v[5:6]
	v_add_f64_e64 v[102:103], v[14:15], -v[26:27]
	v_add_f64_e32 v[70:71], v[22:23], v[44:45]
	v_add_f64_e32 v[74:75], v[24:25], v[46:47]
	v_add_f64_e64 v[106:107], v[7:8], -v[40:41]
	s_wait_dscnt 0x1
	v_add_f64_e32 v[86:87], v[0:1], v[5:6]
	v_add_f64_e32 v[104:105], v[2:3], v[7:8]
	v_add_f64_e64 v[108:109], v[28:29], -v[16:17]
	v_add_f64_e64 v[110:111], v[40:41], -v[7:8]
	;; [unrolled: 1-line block ×3, first 2 shown]
	s_wait_dscnt 0x0
	v_add_f64_e32 v[114:115], v[10:11], v[30:31]
	v_add_f64_e64 v[116:117], v[30:31], -v[22:23]
	v_add_f64_e32 v[124:125], v[12:13], v[32:33]
	v_add_f64_e64 v[120:121], v[22:23], -v[30:31]
	v_add_f64_e64 v[126:127], v[32:33], -v[24:25]
	;; [unrolled: 1-line block ×5, first 2 shown]
	global_wb scope:SCOPE_SE
	s_barrier_signal -1
	s_barrier_wait -1
	v_add_f64_e32 v[72:73], v[30:31], v[48:49]
	v_add_f64_e32 v[76:77], v[32:33], v[50:51]
	v_add_f64_e64 v[118:119], v[48:49], -v[44:45]
	v_add_f64_e32 v[198:199], v[18:19], v[52:53]
	v_add_f64_e64 v[32:33], v[32:33], -v[50:51]
	v_add_f64_e64 v[200:201], v[52:53], -v[34:35]
	;; [unrolled: 1-line block ×4, first 2 shown]
	v_add_f64_e32 v[78:79], v[34:35], v[56:57]
	v_add_f64_e32 v[80:81], v[52:53], v[60:61]
	global_inv scope:SCOPE_SE
	v_add_f64_e32 v[82:83], v[36:37], v[42:43]
	v_add_f64_e32 v[84:85], v[54:55], v[58:59]
	v_fma_f64 v[62:63], v[62:63], -0.5, v[0:1]
	v_fma_f64 v[0:1], v[64:65], -0.5, v[0:1]
	;; [unrolled: 1-line block ×4, first 2 shown]
	v_add_f64_e32 v[96:97], v[96:97], v[98:99]
	v_add_f64_e64 v[98:99], v[36:37], -v[54:55]
	v_fma_f64 v[70:71], v[70:71], -0.5, v[10:11]
	v_add_f64_e32 v[100:101], v[100:101], v[102:103]
	v_add_f64_e64 v[102:103], v[42:43], -v[58:59]
	v_add_f64_e32 v[86:87], v[86:87], v[38:39]
	v_add_f64_e64 v[38:39], v[38:39], -v[14:15]
	v_add_f64_e64 v[68:69], v[34:35], -v[52:53]
	v_add_f64_e32 v[104:105], v[104:105], v[40:41]
	v_add_f64_e32 v[106:107], v[106:107], v[108:109]
	v_add_f64_e64 v[108:109], v[24:25], -v[46:47]
	v_add_f64_e32 v[110:111], v[110:111], v[112:113]
	v_add_f64_e64 v[112:113], v[22:23], -v[44:45]
	;; [unrolled: 2-line block ×3, first 2 shown]
	v_add_f64_e64 v[66:67], v[60:61], -v[56:57]
	v_add_f64_e64 v[40:41], v[40:41], -v[16:17]
	v_add_f64_e32 v[24:25], v[124:125], v[24:25]
	v_add_f64_e64 v[122:123], v[44:45], -v[48:49]
	v_add_f64_e64 v[30:31], v[30:31], -v[48:49]
	;; [unrolled: 1-line block ×3, first 2 shown]
	v_fma_f64 v[9:10], v[72:73], -0.5, v[10:11]
	v_fma_f64 v[72:73], v[74:75], -0.5, v[12:13]
	v_fma_f64 v[11:12], v[76:77], -0.5, v[12:13]
	v_add_f64_e32 v[76:77], v[20:21], v[54:55]
	v_add_f64_e64 v[74:75], v[56:57], -v[60:61]
	v_add_f64_e32 v[116:117], v[116:117], v[118:119]
	v_add_f64_e64 v[118:119], v[34:35], -v[56:57]
	v_add_f64_e32 v[34:35], v[198:199], v[34:35]
	v_fma_f64 v[78:79], v[78:79], -0.5, v[18:19]
	v_fma_f64 v[18:19], v[80:81], -0.5, v[18:19]
	v_add_f64_e32 v[124:125], v[194:195], v[196:197]
	v_fma_f64 v[80:81], v[82:83], -0.5, v[20:21]
	v_fma_f64 v[20:21], v[84:85], -0.5, v[20:21]
	v_add_f64_e64 v[82:83], v[54:55], -v[36:37]
	v_add_f64_e64 v[84:85], v[58:59], -v[42:43]
	;; [unrolled: 1-line block ×3, first 2 shown]
	v_add_f64_e32 v[13:14], v[86:87], v[14:15]
	v_fma_f64 v[86:87], v[5:6], s[2:3], v[64:65]
	v_fma_f64 v[64:65], v[5:6], s[0:1], v[64:65]
	v_add_f64_e32 v[15:16], v[104:105], v[16:17]
	v_add_f64_e32 v[66:67], v[200:201], v[66:67]
	v_add_f64_e32 v[120:121], v[120:121], v[122:123]
	v_add_f64_e32 v[122:123], v[126:127], v[192:193]
	v_fma_f64 v[104:105], v[108:109], s[2:3], v[9:10]
	v_fma_f64 v[9:10], v[108:109], s[0:1], v[9:10]
	;; [unrolled: 1-line block ×3, first 2 shown]
	v_add_f64_e32 v[36:37], v[76:77], v[36:37]
	v_add_f64_e32 v[76:77], v[98:99], v[102:103]
	v_fma_f64 v[98:99], v[38:39], s[0:1], v[2:3]
	v_fma_f64 v[2:3], v[38:39], s[2:3], v[2:3]
	v_add_f64_e32 v[68:69], v[68:69], v[74:75]
	v_fma_f64 v[102:103], v[32:33], s[0:1], v[70:71]
	v_fma_f64 v[70:71], v[32:33], s[2:3], v[70:71]
	;; [unrolled: 3-line block ×3, first 2 shown]
	v_fma_f64 v[200:201], v[118:119], s[0:1], v[20:21]
	v_add_f64_e32 v[74:75], v[82:83], v[84:85]
	v_fma_f64 v[82:83], v[7:8], s[0:1], v[62:63]
	v_fma_f64 v[19:20], v[118:119], s[2:3], v[20:21]
	v_add_f64_e32 v[21:22], v[22:23], v[44:45]
	v_add_f64_e32 v[23:24], v[24:25], v[46:47]
	v_fma_f64 v[84:85], v[40:41], s[2:3], v[0:1]
	v_fma_f64 v[0:1], v[40:41], s[0:1], v[0:1]
	;; [unrolled: 1-line block ×4, first 2 shown]
	s_wait_alu 0xfffe
	v_fma_f64 v[46:47], v[38:39], s[14:15], v[86:87]
	v_fma_f64 v[38:39], v[38:39], s[8:9], v[64:65]
	;; [unrolled: 1-line block ×8, first 2 shown]
	v_add_f64_e32 v[36:37], v[36:37], v[42:43]
	v_fma_f64 v[56:57], v[5:6], s[14:15], v[98:99]
	v_fma_f64 v[5:6], v[5:6], s[8:9], v[2:3]
	v_add_f64_e32 v[2:3], v[15:16], v[28:29]
	v_fma_f64 v[64:65], v[108:109], s[14:15], v[70:71]
	v_fma_f64 v[70:71], v[32:33], s[8:9], v[104:105]
	;; [unrolled: 1-line block ×8, first 2 shown]
	v_add_f64_e32 v[0:1], v[13:14], v[26:27]
	v_fma_f64 v[62:63], v[108:109], s[8:9], v[102:103]
	v_fma_f64 v[84:85], v[112:113], s[14:15], v[126:127]
	;; [unrolled: 1-line block ×5, first 2 shown]
	v_add_f64_e32 v[10:11], v[21:22], v[48:49]
	v_fma_f64 v[20:21], v[106:107], s[12:13], v[46:47]
	v_fma_f64 v[86:87], v[30:31], s[14:15], v[192:193]
	v_add_f64_e32 v[12:13], v[23:24], v[50:51]
	v_fma_f64 v[24:25], v[106:107], s[12:13], v[38:39]
	v_fma_f64 v[72:73], v[112:113], s[8:9], v[72:73]
	;; [unrolled: 3-line block ×3, first 2 shown]
	v_fma_f64 v[114:115], v[52:53], s[14:15], v[200:201]
	v_fma_f64 v[112:113], v[118:119], s[14:15], v[198:199]
	;; [unrolled: 1-line block ×3, first 2 shown]
	v_add_f64_e32 v[16:17], v[36:37], v[58:59]
	v_fma_f64 v[28:29], v[110:111], s[12:13], v[56:57]
	v_fma_f64 v[32:33], v[110:111], s[12:13], v[5:6]
	scratch_load_b32 v5, off, off offset:292 th:TH_LOAD_LU ; 4-byte Folded Reload
	v_fma_f64 v[48:49], v[120:121], s[12:13], v[70:71]
	v_fma_f64 v[18:19], v[96:97], s[12:13], v[42:43]
	;; [unrolled: 1-line block ×13, first 2 shown]
	s_wait_loadcnt 0x0
	ds_store_b128 v5, v[0:3]
	ds_store_b128 v5, v[18:21] offset:176
	ds_store_b128 v5, v[26:29] offset:352
	ds_store_b128 v5, v[30:33] offset:528
	ds_store_b128 v5, v[22:25] offset:704
	scratch_load_b32 v0, off, off offset:288 th:TH_LOAD_LU ; 4-byte Folded Reload
	v_fma_f64 v[50:51], v[124:125], s[12:13], v[86:87]
	v_fma_f64 v[46:47], v[122:123], s[12:13], v[72:73]
	;; [unrolled: 1-line block ×7, first 2 shown]
	s_wait_loadcnt 0x0
	ds_store_b128 v0, v[10:13]
	ds_store_b128 v0, v[34:37] offset:176
	ds_store_b128 v0, v[48:51] offset:352
	;; [unrolled: 1-line block ×4, first 2 shown]
	scratch_load_b32 v0, off, off offset:284 th:TH_LOAD_LU ; 4-byte Folded Reload
	s_wait_loadcnt 0x0
	ds_store_b128 v0, v[14:17]
	ds_store_b128 v0, v[56:59] offset:176
	ds_store_b128 v0, v[64:67] offset:352
	;; [unrolled: 1-line block ×4, first 2 shown]
	global_wb scope:SCOPE_SE
	s_wait_dscnt 0x0
	s_barrier_signal -1
	s_barrier_wait -1
	global_inv scope:SCOPE_SE
	ds_load_b128 v[0:3], v4 offset:2640
	ds_load_b128 v[5:8], v4 offset:5280
	;; [unrolled: 1-line block ×13, first 2 shown]
	s_wait_dscnt 0xc
	v_mul_f64_e32 v[38:39], v[90:91], v[2:3]
	s_wait_dscnt 0xb
	v_mul_f64_e32 v[42:43], v[94:95], v[7:8]
	;; [unrolled: 2-line block ×3, first 2 shown]
	v_mul_f64_e32 v[62:63], v[94:95], v[5:6]
	v_mul_f64_e32 v[68:69], v[138:139], v[10:11]
	;; [unrolled: 1-line block ×3, first 2 shown]
	s_wait_dscnt 0x9
	v_mul_f64_e32 v[64:65], v[134:135], v[16:17]
	v_mul_f64_e32 v[66:67], v[134:135], v[14:15]
	s_wait_dscnt 0x7
	v_mul_f64_e32 v[74:75], v[94:95], v[24:25]
	s_wait_dscnt 0x6
	v_mul_f64_e32 v[76:77], v[138:139], v[28:29]
	v_mul_f64_e32 v[78:79], v[94:95], v[22:23]
	;; [unrolled: 1-line block ×5, first 2 shown]
	s_wait_dscnt 0x5
	v_mul_f64_e32 v[80:81], v[134:135], v[32:33]
	v_mul_f64_e32 v[84:85], v[134:135], v[30:31]
	s_wait_dscnt 0x3
	v_mul_f64_e32 v[86:87], v[150:151], v[46:47]
	s_wait_dscnt 0x2
	;; [unrolled: 2-line block ×4, first 2 shown]
	v_mul_f64_e32 v[100:101], v[154:155], v[58:59]
	v_mul_f64_e32 v[90:91], v[150:151], v[44:45]
	v_mul_f64_e32 v[98:99], v[146:147], v[48:49]
	v_mul_f64_e32 v[102:103], v[158:159], v[52:53]
	v_mul_f64_e32 v[104:105], v[154:155], v[56:57]
	v_fma_f64 v[38:39], v[88:89], v[0:1], v[38:39]
	v_fma_f64 v[42:43], v[92:93], v[5:6], v[42:43]
	v_fma_f64 v[9:10], v[136:137], v[10:11], v[60:61]
	v_fma_f64 v[60:61], v[92:93], v[7:8], -v[62:63]
	v_fma_f64 v[11:12], v[136:137], v[12:13], -v[68:69]
	v_fma_f64 v[40:41], v[88:89], v[2:3], -v[40:41]
	v_fma_f64 v[14:15], v[132:133], v[14:15], v[64:65]
	v_fma_f64 v[16:17], v[132:133], v[16:17], -v[66:67]
	v_fma_f64 v[22:23], v[92:93], v[22:23], v[74:75]
	v_fma_f64 v[26:27], v[136:137], v[26:27], v[76:77]
	v_fma_f64 v[24:25], v[92:93], v[24:25], -v[78:79]
	v_fma_f64 v[28:29], v[136:137], v[28:29], -v[82:83]
	v_fma_f64 v[18:19], v[88:89], v[18:19], v[70:71]
	v_fma_f64 v[20:21], v[88:89], v[20:21], -v[72:73]
	v_fma_f64 v[30:31], v[132:133], v[30:31], v[80:81]
	;; [unrolled: 2-line block ×3, first 2 shown]
	v_fma_f64 v[48:49], v[144:145], v[48:49], v[94:95]
	v_fma_f64 v[52:53], v[156:157], v[52:53], v[96:97]
	;; [unrolled: 1-line block ×3, first 2 shown]
	v_fma_f64 v[46:47], v[148:149], v[46:47], -v[90:91]
	v_fma_f64 v[50:51], v[144:145], v[50:51], -v[98:99]
	;; [unrolled: 1-line block ×4, first 2 shown]
	ds_load_b128 v[0:3], v4
	ds_load_b128 v[5:8], v4 offset:880
	global_wb scope:SCOPE_SE
	s_wait_dscnt 0x0
	s_barrier_signal -1
	s_barrier_wait -1
	global_inv scope:SCOPE_SE
	v_add_f64_e64 v[76:77], v[38:39], -v[42:43]
	v_add_f64_e32 v[62:63], v[42:43], v[9:10]
	v_add_f64_e64 v[84:85], v[42:43], -v[38:39]
	v_add_f64_e32 v[70:71], v[60:61], v[11:12]
	v_add_f64_e64 v[72:73], v[60:61], -v[11:12]
	v_add_f64_e32 v[66:67], v[38:39], v[14:15]
	v_add_f64_e32 v[74:75], v[40:41], v[16:17]
	v_add_f64_e32 v[64:65], v[0:1], v[38:39]
	;; [unrolled: 1-line block ×5, first 2 shown]
	v_add_f64_e64 v[68:69], v[40:41], -v[16:17]
	v_add_f64_e64 v[80:81], v[14:15], -v[9:10]
	v_add_f64_e32 v[82:83], v[18:19], v[30:31]
	v_add_f64_e32 v[90:91], v[20:21], v[32:33]
	v_add_f64_e64 v[88:89], v[9:10], -v[14:15]
	v_add_f64_e64 v[38:39], v[38:39], -v[14:15]
	v_add_f64_e32 v[94:95], v[48:49], v[52:53]
	v_add_f64_e32 v[96:97], v[44:45], v[56:57]
	;; [unrolled: 1-line block ×5, first 2 shown]
	v_add_f64_e64 v[98:99], v[42:43], -v[9:10]
	v_add_f64_e32 v[100:101], v[50:51], v[54:55]
	v_add_f64_e32 v[102:103], v[46:47], v[58:59]
	v_add_f64_e64 v[104:105], v[40:41], -v[60:61]
	v_add_f64_e64 v[106:107], v[16:17], -v[11:12]
	v_add_f64_e32 v[134:135], v[36:37], v[46:47]
	v_add_f64_e64 v[112:113], v[20:21], -v[32:33]
	v_add_f64_e64 v[116:117], v[18:19], -v[22:23]
	;; [unrolled: 1-line block ×11, first 2 shown]
	v_fma_f64 v[62:63], v[62:63], -0.5, v[0:1]
	v_add_f64_e64 v[146:147], v[44:45], -v[56:57]
	v_fma_f64 v[70:71], v[70:71], -0.5, v[2:3]
	v_add_f64_e64 v[44:45], v[48:49], -v[44:45]
	v_fma_f64 v[0:1], v[66:67], -0.5, v[0:1]
	v_fma_f64 v[2:3], v[74:75], -0.5, v[2:3]
	v_add_f64_e32 v[42:43], v[64:65], v[42:43]
	v_fma_f64 v[78:79], v[78:79], -0.5, v[5:6]
	v_add_f64_e32 v[60:61], v[92:93], v[60:61]
	v_fma_f64 v[86:87], v[86:87], -0.5, v[7:8]
	v_add_f64_e64 v[74:75], v[28:29], -v[32:33]
	v_add_f64_e32 v[64:65], v[76:77], v[80:81]
	v_fma_f64 v[5:6], v[82:83], -0.5, v[5:6]
	v_fma_f64 v[7:8], v[90:91], -0.5, v[7:8]
	v_add_f64_e32 v[76:77], v[84:85], v[88:89]
	v_add_f64_e64 v[118:119], v[30:31], -v[26:27]
	v_fma_f64 v[94:95], v[94:95], -0.5, v[34:35]
	v_fma_f64 v[34:35], v[96:97], -0.5, v[34:35]
	v_add_f64_e64 v[96:97], v[48:49], -v[52:53]
	v_add_f64_e32 v[22:23], v[110:111], v[22:23]
	v_add_f64_e32 v[24:25], v[124:125], v[24:25]
	;; [unrolled: 1-line block ×3, first 2 shown]
	v_fma_f64 v[100:101], v[100:101], -0.5, v[36:37]
	v_fma_f64 v[36:37], v[102:103], -0.5, v[36:37]
	v_add_f64_e64 v[102:103], v[52:53], -v[56:57]
	v_add_f64_e32 v[80:81], v[104:105], v[106:107]
	v_add_f64_e64 v[122:123], v[26:27], -v[30:31]
	v_add_f64_e64 v[138:139], v[46:47], -v[58:59]
	;; [unrolled: 1-line block ×6, first 2 shown]
	v_add_f64_e32 v[50:51], v[134:135], v[50:51]
	v_add_f64_e64 v[66:67], v[32:33], -v[28:29]
	v_add_f64_e32 v[40:41], v[40:41], v[108:109]
	v_add_f64_e64 v[90:91], v[56:57], -v[52:53]
	v_add_f64_e64 v[150:151], v[58:59], -v[54:55]
	v_fma_f64 v[84:85], v[68:69], s[0:1], v[62:63]
	v_fma_f64 v[62:63], v[68:69], s[2:3], v[62:63]
	;; [unrolled: 1-line block ×16, first 2 shown]
	v_add_f64_e32 v[9:10], v[42:43], v[9:10]
	v_add_f64_e32 v[11:12], v[60:61], v[11:12]
	;; [unrolled: 1-line block ×7, first 2 shown]
	v_fma_f64 v[156:157], v[96:97], s[0:1], v[36:37]
	v_add_f64_e32 v[102:103], v[44:45], v[102:103]
	v_fma_f64 v[36:37], v[96:97], s[2:3], v[36:37]
	v_add_f64_e32 v[118:119], v[120:121], v[122:123]
	v_fma_f64 v[132:133], v[138:139], s[0:1], v[94:95]
	v_fma_f64 v[134:135], v[82:83], s[2:3], v[34:35]
	;; [unrolled: 1-line block ×4, first 2 shown]
	v_add_f64_e32 v[122:123], v[46:47], v[152:153]
	v_add_f64_e32 v[26:27], v[50:51], v[54:55]
	;; [unrolled: 1-line block ×3, first 2 shown]
	v_fma_f64 v[154:155], v[146:147], s[2:3], v[100:101]
	v_fma_f64 v[100:101], v[146:147], s[0:1], v[100:101]
	v_add_f64_e32 v[90:91], v[144:145], v[90:91]
	v_add_f64_e32 v[120:121], v[148:149], v[150:151]
	v_fma_f64 v[28:29], v[72:73], s[8:9], v[84:85]
	v_fma_f64 v[42:43], v[72:73], s[14:15], v[62:63]
	;; [unrolled: 1-line block ×16, first 2 shown]
	v_add_f64_e32 v[0:1], v[9:10], v[14:15]
	v_add_f64_e32 v[2:3], v[11:12], v[16:17]
	s_mov_b32 s0, 0xe8584caa
	v_add_f64_e32 v[5:6], v[20:21], v[30:31]
	v_add_f64_e32 v[7:8], v[22:23], v[32:33]
	;; [unrolled: 1-line block ×3, first 2 shown]
	s_mov_b32 s1, 0xbfebb67a
	v_fma_f64 v[98:99], v[146:147], s[14:15], v[156:157]
	s_mov_b32 s3, 0x3febb67a
	v_fma_f64 v[104:105], v[146:147], s[8:9], v[36:37]
	s_wait_alu 0xfffe
	s_mov_b32 s2, s0
	v_fma_f64 v[86:87], v[82:83], s[8:9], v[132:133]
	v_fma_f64 v[88:89], v[138:139], s[8:9], v[134:135]
	;; [unrolled: 1-line block ×4, first 2 shown]
	v_add_f64_e32 v[12:13], v[26:27], v[58:59]
	v_fma_f64 v[94:95], v[96:97], s[14:15], v[154:155]
	v_fma_f64 v[96:97], v[96:97], s[8:9], v[100:101]
	;; [unrolled: 1-line block ×18, first 2 shown]
	ds_store_b128 v4, v[0:3]
	ds_store_b128 v4, v[14:17] offset:880
	ds_store_b128 v4, v[22:25] offset:1760
	;; [unrolled: 1-line block ×9, first 2 shown]
	scratch_load_b32 v0, off, off offset:296 th:TH_LOAD_LU ; 4-byte Folded Reload
	v_fma_f64 v[52:53], v[90:91], s[12:13], v[86:87]
	v_fma_f64 v[54:55], v[120:121], s[12:13], v[94:95]
	;; [unrolled: 1-line block ×8, first 2 shown]
	s_wait_loadcnt 0x0
	ds_store_b128 v0, v[10:13] offset:8800
	ds_store_b128 v0, v[52:55] offset:9680
	;; [unrolled: 1-line block ×5, first 2 shown]
	global_wb scope:SCOPE_SE
	s_wait_dscnt 0x0
	s_barrier_signal -1
	s_barrier_wait -1
	global_inv scope:SCOPE_SE
	ds_load_b128 v[0:3], v4 offset:4400
	ds_load_b128 v[5:8], v4 offset:8800
	;; [unrolled: 1-line block ×11, first 2 shown]
	s_wait_dscnt 0xa
	v_mul_f64_e32 v[39:40], v[130:131], v[0:1]
	s_wait_dscnt 0x9
	v_mul_f64_e32 v[52:53], v[142:143], v[5:6]
	v_mul_f64_e32 v[37:38], v[130:131], v[2:3]
	;; [unrolled: 1-line block ×3, first 2 shown]
	s_wait_dscnt 0x6
	v_mul_f64_e32 v[64:65], v[174:175], v[17:18]
	s_wait_dscnt 0x5
	v_mul_f64_e32 v[68:69], v[170:171], v[21:22]
	v_mul_f64_e32 v[54:55], v[166:167], v[11:12]
	;; [unrolled: 1-line block ×7, first 2 shown]
	s_wait_dscnt 0x3
	v_mul_f64_e32 v[72:73], v[178:179], v[31:32]
	v_mul_f64_e32 v[74:75], v[182:183], v[25:26]
	;; [unrolled: 1-line block ×3, first 2 shown]
	s_wait_dscnt 0x2
	v_mul_f64_e32 v[82:83], v[190:191], v[33:34]
	v_mul_f64_e32 v[70:71], v[182:183], v[27:28]
	;; [unrolled: 1-line block ×3, first 2 shown]
	s_wait_dscnt 0x1
	v_mul_f64_e32 v[80:81], v[186:187], v[46:47]
	v_mul_f64_e32 v[84:85], v[186:187], v[44:45]
	v_fma_f64 v[39:40], v[128:129], v[2:3], -v[39:40]
	v_fma_f64 v[52:53], v[140:141], v[7:8], -v[52:53]
	v_fma_f64 v[37:38], v[128:129], v[0:1], v[37:38]
	v_fma_f64 v[41:42], v[140:141], v[5:6], v[41:42]
	v_fma_f64 v[19:20], v[172:173], v[19:20], -v[64:65]
	v_fma_f64 v[23:24], v[168:169], v[23:24], -v[68:69]
	ds_load_b128 v[0:3], v4
	ds_load_b128 v[5:8], v4 offset:880
	v_fma_f64 v[54:55], v[164:165], v[9:10], v[54:55]
	v_fma_f64 v[56:57], v[164:165], v[11:12], -v[56:57]
	v_fma_f64 v[58:59], v[160:161], v[13:14], v[58:59]
	v_fma_f64 v[60:61], v[160:161], v[15:16], -v[60:61]
	ds_load_b128 v[9:12], v4 offset:1760
	ds_load_b128 v[13:16], v4 offset:2640
	v_fma_f64 v[17:18], v[172:173], v[17:18], v[62:63]
	v_fma_f64 v[29:30], v[176:177], v[29:30], v[72:73]
	v_fma_f64 v[27:28], v[180:181], v[27:28], -v[74:75]
	v_fma_f64 v[31:32], v[176:177], v[31:32], -v[76:77]
	;; [unrolled: 1-line block ×3, first 2 shown]
	v_fma_f64 v[21:22], v[168:169], v[21:22], v[66:67]
	v_fma_f64 v[25:26], v[180:181], v[25:26], v[70:71]
	;; [unrolled: 1-line block ×4, first 2 shown]
	v_fma_f64 v[45:46], v[184:185], v[46:47], -v[84:85]
	v_add_f64_e32 v[64:65], v[39:40], v[52:53]
	s_wait_dscnt 0x3
	v_add_f64_e32 v[82:83], v[0:1], v[37:38]
	v_add_f64_e32 v[62:63], v[37:38], v[41:42]
	s_wait_dscnt 0x1
	v_add_f64_e32 v[92:93], v[11:12], v[19:20]
	v_add_f64_e32 v[72:73], v[19:20], v[23:24]
	v_add_f64_e64 v[37:38], v[37:38], -v[41:42]
	v_add_f64_e64 v[102:103], v[19:20], -v[23:24]
	;; [unrolled: 1-line block ×3, first 2 shown]
	v_add_f64_e32 v[39:40], v[2:3], v[39:40]
	v_add_f64_e32 v[66:67], v[54:55], v[58:59]
	v_add_f64_e32 v[68:69], v[56:57], v[60:61]
	v_add_f64_e32 v[86:87], v[5:6], v[54:55]
	v_add_f64_e32 v[88:89], v[7:8], v[56:57]
	v_add_f64_e32 v[90:91], v[9:10], v[17:18]
	s_wait_dscnt 0x0
	v_add_f64_e32 v[96:97], v[15:16], v[27:28]
	v_add_f64_e32 v[76:77], v[27:28], v[31:32]
	v_add_f64_e64 v[106:107], v[27:28], -v[31:32]
	v_add_f64_e32 v[70:71], v[17:18], v[21:22]
	v_add_f64_e32 v[74:75], v[25:26], v[29:30]
	;; [unrolled: 1-line block ×5, first 2 shown]
	v_add_f64_e64 v[56:57], v[56:57], -v[60:61]
	v_add_f64_e64 v[54:55], v[54:55], -v[58:59]
	v_add_f64_e32 v[98:99], v[48:49], v[33:34]
	v_add_f64_e32 v[100:101], v[50:51], v[35:36]
	v_add_f64_e64 v[104:105], v[17:18], -v[21:22]
	v_add_f64_e64 v[108:109], v[25:26], -v[29:30]
	;; [unrolled: 1-line block ×4, first 2 shown]
	v_fma_f64 v[64:65], v[64:65], -0.5, v[2:3]
	v_fma_f64 v[62:63], v[62:63], -0.5, v[0:1]
	v_add_f64_e32 v[0:1], v[82:83], v[41:42]
	v_fma_f64 v[72:73], v[72:73], -0.5, v[11:12]
	v_add_f64_e32 v[11:12], v[92:93], v[23:24]
	scratch_load_b32 v41, off, off th:TH_LOAD_LU ; 4-byte Folded Reload
	v_add_f64_e32 v[2:3], v[39:40], v[52:53]
	v_fma_f64 v[66:67], v[66:67], -0.5, v[5:6]
	v_fma_f64 v[68:69], v[68:69], -0.5, v[7:8]
	v_add_f64_e32 v[5:6], v[86:87], v[58:59]
	v_add_f64_e32 v[7:8], v[88:89], v[60:61]
	v_fma_f64 v[76:77], v[76:77], -0.5, v[15:16]
	v_add_f64_e32 v[15:16], v[96:97], v[31:32]
	v_fma_f64 v[70:71], v[70:71], -0.5, v[9:10]
	v_fma_f64 v[74:75], v[74:75], -0.5, v[13:14]
	v_add_f64_e32 v[9:10], v[90:91], v[21:22]
	v_fma_f64 v[78:79], v[78:79], -0.5, v[48:49]
	v_fma_f64 v[80:81], v[80:81], -0.5, v[50:51]
	v_add_f64_e32 v[13:14], v[94:95], v[29:30]
	v_add_f64_e32 v[17:18], v[98:99], v[43:44]
	;; [unrolled: 1-line block ×3, first 2 shown]
	s_wait_alu 0xfffe
	v_fma_f64 v[23:24], v[37:38], s[2:3], v[64:65]
	v_fma_f64 v[27:28], v[37:38], s[0:1], v[64:65]
	scratch_load_b64 v[37:38], off, off offset:212 th:TH_LOAD_LU ; 8-byte Folded Reload
	v_fma_f64 v[25:26], v[84:85], s[2:3], v[62:63]
	v_fma_f64 v[46:47], v[104:105], s[2:3], v[72:73]
	;; [unrolled: 1-line block ×18, first 2 shown]
	ds_store_b128 v4, v[0:3]
	ds_store_b128 v4, v[5:8] offset:880
	ds_store_b128 v4, v[9:12] offset:1760
	;; [unrolled: 1-line block ×14, first 2 shown]
	global_wb scope:SCOPE_SE
	s_wait_loadcnt_dscnt 0x0
	s_barrier_signal -1
	s_barrier_wait -1
	global_inv scope:SCOPE_SE
	ds_load_b128 v[0:3], v4
	ds_load_b128 v[5:8], v4 offset:1200
	ds_load_b128 v[9:12], v4 offset:2400
	;; [unrolled: 1-line block ×5, first 2 shown]
	s_mul_u64 s[2:3], s[4:5], 0x4b
	s_wait_alu 0xfffe
	s_lshl_b64 s[2:3], s[2:3], 4
	v_mad_co_u64_u32 v[39:40], null, s4, v41, 0
	s_delay_alu instid0(VALU_DEP_1) | instskip(NEXT) | instid1(VALU_DEP_1)
	v_mad_co_u64_u32 v[33:34], null, s5, v41, v[40:41]
	v_mov_b32_e32 v40, v33
	v_mov_b32_e32 v42, v37
	s_delay_alu instid0(VALU_DEP_1) | instskip(NEXT) | instid1(VALU_DEP_1)
	v_mad_co_u64_u32 v[37:38], null, s6, v42, 0
	v_mad_co_u64_u32 v[25:26], null, s7, v42, v[38:39]
	s_delay_alu instid0(VALU_DEP_4) | instskip(SKIP_2) | instid1(VALU_DEP_2)
	v_lshlrev_b64_e32 v[39:40], 4, v[39:40]
	s_mov_b32 s6, 0x3dc013dc
	s_mov_b32 s7, 0x3f53dc01
	v_mov_b32_e32 v38, v25
	ds_load_b128 v[25:28], v4 offset:7200
	ds_load_b128 v[29:32], v4 offset:8400
	ds_load_b128 v[33:36], v4 offset:9600
	ds_load_b128 v[44:47], v4 offset:10800
	ds_load_b128 v[48:51], v4 offset:12000
	s_clause 0x1
	scratch_load_b128 v[98:101], off, off offset:100 th:TH_LOAD_LU
	scratch_load_b128 v[118:121], off, off offset:252 th:TH_LOAD_LU
	v_lshlrev_b64_e32 v[37:38], 4, v[37:38]
	s_delay_alu instid0(VALU_DEP_1) | instskip(SKIP_1) | instid1(VALU_DEP_2)
	v_add_co_u32 v37, s0, s10, v37
	s_wait_alu 0xf1ff
	v_add_co_ci_u32_e64 v38, s0, s11, v38, s0
	s_delay_alu instid0(VALU_DEP_2) | instskip(SKIP_1) | instid1(VALU_DEP_2)
	v_add_co_u32 v94, s0, v37, v39
	s_wait_alu 0xf1ff
	v_add_co_ci_u32_e64 v95, s0, v38, v40, s0
	s_wait_alu 0xfffe
	s_delay_alu instid0(VALU_DEP_2) | instskip(SKIP_1) | instid1(VALU_DEP_2)
	v_add_co_u32 v96, s0, v94, s2
	s_wait_alu 0xf1ff
	v_add_co_ci_u32_e64 v97, s0, s3, v95, s0
	s_wait_loadcnt_dscnt 0x10a
	v_mul_f64_e32 v[41:42], v[100:101], v[2:3]
	v_mul_f64_e32 v[52:53], v[100:101], v[0:1]
	scratch_load_b128 v[100:103], off, off offset:116 th:TH_LOAD_LU ; 16-byte Folded Reload
	s_wait_loadcnt_dscnt 0x102
	v_mul_f64_e32 v[82:83], v[120:121], v[35:36]
	v_mul_f64_e32 v[84:85], v[120:121], v[33:34]
	scratch_load_b128 v[120:123], off, off offset:268 th:TH_LOAD_LU ; 16-byte Folded Reload
	v_fma_f64 v[0:1], v[98:99], v[0:1], v[41:42]
	v_fma_f64 v[2:3], v[98:99], v[2:3], -v[52:53]
	s_wait_loadcnt 0x1
	v_mul_f64_e32 v[54:55], v[102:103], v[7:8]
	v_mul_f64_e32 v[56:57], v[102:103], v[5:6]
	scratch_load_b128 v[102:105], off, off offset:132 th:TH_LOAD_LU ; 16-byte Folded Reload
	s_wait_loadcnt_dscnt 0x100
	v_mul_f64_e32 v[90:91], v[122:123], v[50:51]
	v_mul_f64_e32 v[92:93], v[122:123], v[48:49]
	v_fma_f64 v[37:38], v[100:101], v[5:6], v[54:55]
	v_fma_f64 v[39:40], v[100:101], v[7:8], -v[56:57]
	v_mul_f64_e32 v[5:6], s[6:7], v[0:1]
	v_mul_f64_e32 v[7:8], s[6:7], v[2:3]
	s_wait_loadcnt 0x0
	v_mul_f64_e32 v[58:59], v[104:105], v[11:12]
	v_mul_f64_e32 v[60:61], v[104:105], v[9:10]
	scratch_load_b128 v[104:107], off, off offset:148 th:TH_LOAD_LU ; 16-byte Folded Reload
	v_fma_f64 v[41:42], v[102:103], v[9:10], v[58:59]
	v_fma_f64 v[52:53], v[102:103], v[11:12], -v[60:61]
	v_mul_f64_e32 v[9:10], s[6:7], v[37:38]
	v_mul_f64_e32 v[11:12], s[6:7], v[39:40]
	s_wait_loadcnt 0x0
	v_mul_f64_e32 v[62:63], v[106:107], v[15:16]
	v_mul_f64_e32 v[64:65], v[106:107], v[13:14]
	scratch_load_b128 v[106:109], off, off offset:164 th:TH_LOAD_LU ; 16-byte Folded Reload
	;; [unrolled: 8-line block ×5, first 2 shown]
	v_fma_f64 v[66:67], v[110:111], v[25:26], v[74:75]
	v_fma_f64 v[68:69], v[110:111], v[27:28], -v[76:77]
	v_fma_f64 v[74:75], v[118:119], v[33:34], v[82:83]
	v_fma_f64 v[76:77], v[118:119], v[35:36], -v[84:85]
	v_mul_f64_e32 v[25:26], s[6:7], v[62:63]
	v_mul_f64_e32 v[27:28], s[6:7], v[64:65]
	s_delay_alu instid0(VALU_DEP_4) | instskip(NEXT) | instid1(VALU_DEP_4)
	v_mul_f64_e32 v[37:38], s[6:7], v[74:75]
	v_mul_f64_e32 v[39:40], s[6:7], v[76:77]
	s_wait_loadcnt 0x0
	v_mul_f64_e32 v[78:79], v[114:115], v[31:32]
	v_mul_f64_e32 v[80:81], v[114:115], v[29:30]
	scratch_load_b128 v[114:117], off, off offset:236 th:TH_LOAD_LU ; 16-byte Folded Reload
	v_fma_f64 v[70:71], v[112:113], v[29:30], v[78:79]
	v_fma_f64 v[72:73], v[112:113], v[31:32], -v[80:81]
	v_add_co_u32 v78, s0, v96, s2
	s_wait_alu 0xf1ff
	v_add_co_ci_u32_e64 v79, s0, s3, v97, s0
	v_mul_f64_e32 v[29:30], s[6:7], v[66:67]
	s_delay_alu instid0(VALU_DEP_3) | instskip(SKIP_1) | instid1(VALU_DEP_3)
	v_add_co_u32 v80, s0, v78, s2
	s_wait_alu 0xf1ff
	v_add_co_ci_u32_e64 v81, s0, s3, v79, s0
	v_mul_f64_e32 v[31:32], s[6:7], v[68:69]
	s_delay_alu instid0(VALU_DEP_3) | instskip(SKIP_1) | instid1(VALU_DEP_3)
	v_add_co_u32 v82, s0, v80, s2
	s_wait_alu 0xf1ff
	v_add_co_ci_u32_e64 v83, s0, s3, v81, s0
	s_delay_alu instid0(VALU_DEP_2) | instskip(SKIP_1) | instid1(VALU_DEP_2)
	v_add_co_u32 v2, s0, v82, s2
	s_wait_alu 0xf1ff
	v_add_co_ci_u32_e64 v3, s0, s3, v83, s0
	v_mul_f64_e32 v[33:34], s[6:7], v[70:71]
	v_mul_f64_e32 v[35:36], s[6:7], v[72:73]
	s_wait_loadcnt 0x0
	v_mul_f64_e32 v[86:87], v[116:117], v[46:47]
	v_mul_f64_e32 v[88:89], v[116:117], v[44:45]
	s_delay_alu instid0(VALU_DEP_2) | instskip(NEXT) | instid1(VALU_DEP_2)
	v_fma_f64 v[43:44], v[114:115], v[44:45], v[86:87]
	v_fma_f64 v[45:46], v[114:115], v[46:47], -v[88:89]
	v_fma_f64 v[47:48], v[120:121], v[48:49], v[90:91]
	v_fma_f64 v[49:50], v[120:121], v[50:51], -v[92:93]
	s_delay_alu instid0(VALU_DEP_4) | instskip(NEXT) | instid1(VALU_DEP_4)
	v_mul_f64_e32 v[41:42], s[6:7], v[43:44]
	v_mul_f64_e32 v[43:44], s[6:7], v[45:46]
	s_delay_alu instid0(VALU_DEP_4) | instskip(NEXT) | instid1(VALU_DEP_4)
	v_mul_f64_e32 v[45:46], s[6:7], v[47:48]
	v_mul_f64_e32 v[47:48], s[6:7], v[49:50]
	v_add_co_u32 v49, s0, v2, s2
	s_wait_alu 0xf1ff
	v_add_co_ci_u32_e64 v50, s0, s3, v3, s0
	s_delay_alu instid0(VALU_DEP_2) | instskip(SKIP_1) | instid1(VALU_DEP_2)
	v_add_co_u32 v51, s0, v49, s2
	s_wait_alu 0xf1ff
	v_add_co_ci_u32_e64 v52, s0, s3, v50, s0
	s_delay_alu instid0(VALU_DEP_2) | instskip(SKIP_1) | instid1(VALU_DEP_2)
	;; [unrolled: 4-line block ×4, first 2 shown]
	v_add_co_u32 v0, s0, v55, s2
	s_wait_alu 0xf1ff
	v_add_co_ci_u32_e64 v1, s0, s3, v56, s0
	s_clause 0x4
	global_store_b128 v[94:95], v[5:8], off
	global_store_b128 v[96:97], v[9:12], off
	;; [unrolled: 1-line block ×11, first 2 shown]
	s_and_b32 exec_lo, exec_lo, vcc_lo
	s_cbranch_execz .LBB0_15
; %bb.14:
	global_load_b128 v[5:8], v[252:253], off offset:880
	ds_load_b128 v[9:12], v4 offset:880
	ds_load_b128 v[13:16], v4 offset:2080
	s_mul_i32 s0, s5, 0xffffd490
	s_wait_alu 0xfffe
	s_sub_co_i32 s0, s0, s4
	s_wait_loadcnt_dscnt 0x1
	v_mul_f64_e32 v[2:3], v[11:12], v[7:8]
	v_mul_f64_e32 v[7:8], v[9:10], v[7:8]
	s_delay_alu instid0(VALU_DEP_2) | instskip(NEXT) | instid1(VALU_DEP_2)
	v_fma_f64 v[2:3], v[9:10], v[5:6], v[2:3]
	v_fma_f64 v[7:8], v[5:6], v[11:12], -v[7:8]
	v_mad_co_u64_u32 v[9:10], null, 0xffffd490, s4, v[0:1]
	s_wait_alu 0xfffe
	s_delay_alu instid0(VALU_DEP_1) | instskip(NEXT) | instid1(VALU_DEP_4)
	v_add_nc_u32_e32 v10, s0, v10
	v_mul_f64_e32 v[5:6], s[6:7], v[2:3]
	s_delay_alu instid0(VALU_DEP_4)
	v_mul_f64_e32 v[7:8], s[6:7], v[7:8]
	global_store_b128 v[9:10], v[5:8], off
	global_load_b128 v[0:3], v[252:253], off offset:2080
	s_wait_loadcnt_dscnt 0x0
	v_mul_f64_e32 v[5:6], v[15:16], v[2:3]
	v_mul_f64_e32 v[2:3], v[13:14], v[2:3]
	s_delay_alu instid0(VALU_DEP_2) | instskip(NEXT) | instid1(VALU_DEP_2)
	v_fma_f64 v[5:6], v[13:14], v[0:1], v[5:6]
	v_fma_f64 v[2:3], v[0:1], v[15:16], -v[2:3]
	v_add_co_u32 v13, vcc_lo, v9, s2
	s_wait_alu 0xfffd
	v_add_co_ci_u32_e32 v14, vcc_lo, s3, v10, vcc_lo
	s_delay_alu instid0(VALU_DEP_4) | instskip(NEXT) | instid1(VALU_DEP_4)
	v_mul_f64_e32 v[0:1], s[6:7], v[5:6]
	v_mul_f64_e32 v[2:3], s[6:7], v[2:3]
	global_store_b128 v[13:14], v[0:3], off
	global_load_b128 v[0:3], v[252:253], off offset:3280
	ds_load_b128 v[5:8], v4 offset:3280
	ds_load_b128 v[9:12], v4 offset:4480
	s_wait_loadcnt_dscnt 0x1
	v_mul_f64_e32 v[15:16], v[7:8], v[2:3]
	v_mul_f64_e32 v[2:3], v[5:6], v[2:3]
	s_delay_alu instid0(VALU_DEP_2) | instskip(NEXT) | instid1(VALU_DEP_2)
	v_fma_f64 v[5:6], v[5:6], v[0:1], v[15:16]
	v_fma_f64 v[2:3], v[0:1], v[7:8], -v[2:3]
	s_delay_alu instid0(VALU_DEP_2) | instskip(NEXT) | instid1(VALU_DEP_2)
	v_mul_f64_e32 v[0:1], s[6:7], v[5:6]
	v_mul_f64_e32 v[2:3], s[6:7], v[2:3]
	v_add_co_u32 v5, vcc_lo, v13, s2
	s_wait_alu 0xfffd
	v_add_co_ci_u32_e32 v6, vcc_lo, s3, v14, vcc_lo
	s_delay_alu instid0(VALU_DEP_2) | instskip(SKIP_1) | instid1(VALU_DEP_2)
	v_add_co_u32 v13, vcc_lo, v5, s2
	s_wait_alu 0xfffd
	v_add_co_ci_u32_e32 v14, vcc_lo, s3, v6, vcc_lo
	global_store_b128 v[5:6], v[0:3], off
	global_load_b128 v[0:3], v[252:253], off offset:4480
	s_wait_loadcnt_dscnt 0x0
	v_mul_f64_e32 v[7:8], v[11:12], v[2:3]
	v_mul_f64_e32 v[2:3], v[9:10], v[2:3]
	s_delay_alu instid0(VALU_DEP_2) | instskip(NEXT) | instid1(VALU_DEP_2)
	v_fma_f64 v[7:8], v[9:10], v[0:1], v[7:8]
	v_fma_f64 v[2:3], v[0:1], v[11:12], -v[2:3]
	s_delay_alu instid0(VALU_DEP_2) | instskip(NEXT) | instid1(VALU_DEP_2)
	v_mul_f64_e32 v[0:1], s[6:7], v[7:8]
	v_mul_f64_e32 v[2:3], s[6:7], v[2:3]
	global_store_b128 v[13:14], v[0:3], off
	global_load_b128 v[0:3], v[252:253], off offset:5680
	ds_load_b128 v[5:8], v4 offset:5680
	ds_load_b128 v[9:12], v4 offset:6880
	s_wait_loadcnt_dscnt 0x1
	v_mul_f64_e32 v[15:16], v[7:8], v[2:3]
	v_mul_f64_e32 v[2:3], v[5:6], v[2:3]
	s_delay_alu instid0(VALU_DEP_2) | instskip(NEXT) | instid1(VALU_DEP_2)
	v_fma_f64 v[5:6], v[5:6], v[0:1], v[15:16]
	v_fma_f64 v[2:3], v[0:1], v[7:8], -v[2:3]
	s_delay_alu instid0(VALU_DEP_2) | instskip(NEXT) | instid1(VALU_DEP_2)
	v_mul_f64_e32 v[0:1], s[6:7], v[5:6]
	v_mul_f64_e32 v[2:3], s[6:7], v[2:3]
	v_add_co_u32 v5, vcc_lo, v13, s2
	s_wait_alu 0xfffd
	v_add_co_ci_u32_e32 v6, vcc_lo, s3, v14, vcc_lo
	s_delay_alu instid0(VALU_DEP_2) | instskip(SKIP_1) | instid1(VALU_DEP_2)
	v_add_co_u32 v13, vcc_lo, v5, s2
	s_wait_alu 0xfffd
	v_add_co_ci_u32_e32 v14, vcc_lo, s3, v6, vcc_lo
	global_store_b128 v[5:6], v[0:3], off
	global_load_b128 v[0:3], v[252:253], off offset:6880
	s_wait_loadcnt_dscnt 0x0
	v_mul_f64_e32 v[7:8], v[11:12], v[2:3]
	v_mul_f64_e32 v[2:3], v[9:10], v[2:3]
	s_delay_alu instid0(VALU_DEP_2) | instskip(NEXT) | instid1(VALU_DEP_2)
	v_fma_f64 v[7:8], v[9:10], v[0:1], v[7:8]
	v_fma_f64 v[2:3], v[0:1], v[11:12], -v[2:3]
	s_delay_alu instid0(VALU_DEP_2) | instskip(NEXT) | instid1(VALU_DEP_2)
	v_mul_f64_e32 v[0:1], s[6:7], v[7:8]
	v_mul_f64_e32 v[2:3], s[6:7], v[2:3]
	global_store_b128 v[13:14], v[0:3], off
	global_load_b128 v[0:3], v[252:253], off offset:8080
	ds_load_b128 v[5:8], v4 offset:8080
	ds_load_b128 v[9:12], v4 offset:9280
	s_wait_loadcnt_dscnt 0x1
	v_mul_f64_e32 v[15:16], v[7:8], v[2:3]
	v_mul_f64_e32 v[2:3], v[5:6], v[2:3]
	s_delay_alu instid0(VALU_DEP_2) | instskip(NEXT) | instid1(VALU_DEP_2)
	v_fma_f64 v[5:6], v[5:6], v[0:1], v[15:16]
	v_fma_f64 v[2:3], v[0:1], v[7:8], -v[2:3]
	s_delay_alu instid0(VALU_DEP_2) | instskip(NEXT) | instid1(VALU_DEP_2)
	v_mul_f64_e32 v[0:1], s[6:7], v[5:6]
	v_mul_f64_e32 v[2:3], s[6:7], v[2:3]
	v_add_co_u32 v5, vcc_lo, v13, s2
	s_wait_alu 0xfffd
	v_add_co_ci_u32_e32 v6, vcc_lo, s3, v14, vcc_lo
	s_delay_alu instid0(VALU_DEP_2) | instskip(SKIP_1) | instid1(VALU_DEP_2)
	v_add_co_u32 v13, vcc_lo, v5, s2
	s_wait_alu 0xfffd
	v_add_co_ci_u32_e32 v14, vcc_lo, s3, v6, vcc_lo
	global_store_b128 v[5:6], v[0:3], off
	global_load_b128 v[0:3], v[252:253], off offset:9280
	s_wait_loadcnt_dscnt 0x0
	v_mul_f64_e32 v[7:8], v[11:12], v[2:3]
	v_mul_f64_e32 v[2:3], v[9:10], v[2:3]
	s_delay_alu instid0(VALU_DEP_2) | instskip(NEXT) | instid1(VALU_DEP_2)
	v_fma_f64 v[7:8], v[9:10], v[0:1], v[7:8]
	v_fma_f64 v[2:3], v[0:1], v[11:12], -v[2:3]
	s_delay_alu instid0(VALU_DEP_2) | instskip(NEXT) | instid1(VALU_DEP_2)
	v_mul_f64_e32 v[0:1], s[6:7], v[7:8]
	v_mul_f64_e32 v[2:3], s[6:7], v[2:3]
	global_store_b128 v[13:14], v[0:3], off
	global_load_b128 v[0:3], v[252:253], off offset:10480
	ds_load_b128 v[5:8], v4 offset:10480
	ds_load_b128 v[9:12], v4 offset:11680
	s_wait_loadcnt_dscnt 0x1
	v_mul_f64_e32 v[15:16], v[7:8], v[2:3]
	v_mul_f64_e32 v[2:3], v[5:6], v[2:3]
	s_delay_alu instid0(VALU_DEP_2) | instskip(NEXT) | instid1(VALU_DEP_2)
	v_fma_f64 v[5:6], v[5:6], v[0:1], v[15:16]
	v_fma_f64 v[2:3], v[0:1], v[7:8], -v[2:3]
	s_delay_alu instid0(VALU_DEP_2) | instskip(NEXT) | instid1(VALU_DEP_2)
	v_mul_f64_e32 v[0:1], s[6:7], v[5:6]
	v_mul_f64_e32 v[2:3], s[6:7], v[2:3]
	v_add_co_u32 v5, vcc_lo, v13, s2
	s_wait_alu 0xfffd
	v_add_co_ci_u32_e32 v6, vcc_lo, s3, v14, vcc_lo
	global_store_b128 v[5:6], v[0:3], off
	global_load_b128 v[0:3], v[252:253], off offset:11680
	s_wait_loadcnt_dscnt 0x0
	v_mul_f64_e32 v[7:8], v[11:12], v[2:3]
	v_mul_f64_e32 v[2:3], v[9:10], v[2:3]
	s_delay_alu instid0(VALU_DEP_2) | instskip(NEXT) | instid1(VALU_DEP_2)
	v_fma_f64 v[7:8], v[9:10], v[0:1], v[7:8]
	v_fma_f64 v[2:3], v[0:1], v[11:12], -v[2:3]
	s_delay_alu instid0(VALU_DEP_2) | instskip(NEXT) | instid1(VALU_DEP_2)
	v_mul_f64_e32 v[0:1], s[6:7], v[7:8]
	v_mul_f64_e32 v[2:3], s[6:7], v[2:3]
	v_add_co_u32 v8, vcc_lo, v5, s2
	s_wait_alu 0xfffd
	v_add_co_ci_u32_e32 v9, vcc_lo, s3, v6, vcc_lo
	ds_load_b128 v[4:7], v4 offset:12880
	global_store_b128 v[8:9], v[0:3], off
	global_load_b128 v[0:3], v[252:253], off offset:12880
	s_wait_loadcnt_dscnt 0x0
	v_mul_f64_e32 v[10:11], v[6:7], v[2:3]
	v_mul_f64_e32 v[2:3], v[4:5], v[2:3]
	s_delay_alu instid0(VALU_DEP_2) | instskip(NEXT) | instid1(VALU_DEP_2)
	v_fma_f64 v[4:5], v[4:5], v[0:1], v[10:11]
	v_fma_f64 v[2:3], v[0:1], v[6:7], -v[2:3]
	s_delay_alu instid0(VALU_DEP_2) | instskip(NEXT) | instid1(VALU_DEP_2)
	v_mul_f64_e32 v[0:1], s[6:7], v[4:5]
	v_mul_f64_e32 v[2:3], s[6:7], v[2:3]
	v_add_co_u32 v4, vcc_lo, v8, s2
	s_wait_alu 0xfffd
	v_add_co_ci_u32_e32 v5, vcc_lo, s3, v9, vcc_lo
	global_store_b128 v[4:5], v[0:3], off
.LBB0_15:
	s_nop 0
	s_sendmsg sendmsg(MSG_DEALLOC_VGPRS)
	s_endpgm
	.section	.rodata,"a",@progbits
	.p2align	6, 0x0
	.amdhsa_kernel bluestein_single_back_len825_dim1_dp_op_CI_CI
		.amdhsa_group_segment_fixed_size 13200
		.amdhsa_private_segment_fixed_size 308
		.amdhsa_kernarg_size 104
		.amdhsa_user_sgpr_count 2
		.amdhsa_user_sgpr_dispatch_ptr 0
		.amdhsa_user_sgpr_queue_ptr 0
		.amdhsa_user_sgpr_kernarg_segment_ptr 1
		.amdhsa_user_sgpr_dispatch_id 0
		.amdhsa_user_sgpr_private_segment_size 0
		.amdhsa_wavefront_size32 1
		.amdhsa_uses_dynamic_stack 0
		.amdhsa_enable_private_segment 1
		.amdhsa_system_sgpr_workgroup_id_x 1
		.amdhsa_system_sgpr_workgroup_id_y 0
		.amdhsa_system_sgpr_workgroup_id_z 0
		.amdhsa_system_sgpr_workgroup_info 0
		.amdhsa_system_vgpr_workitem_id 0
		.amdhsa_next_free_vgpr 256
		.amdhsa_next_free_sgpr 40
		.amdhsa_reserve_vcc 1
		.amdhsa_float_round_mode_32 0
		.amdhsa_float_round_mode_16_64 0
		.amdhsa_float_denorm_mode_32 3
		.amdhsa_float_denorm_mode_16_64 3
		.amdhsa_fp16_overflow 0
		.amdhsa_workgroup_processor_mode 1
		.amdhsa_memory_ordered 1
		.amdhsa_forward_progress 0
		.amdhsa_round_robin_scheduling 0
		.amdhsa_exception_fp_ieee_invalid_op 0
		.amdhsa_exception_fp_denorm_src 0
		.amdhsa_exception_fp_ieee_div_zero 0
		.amdhsa_exception_fp_ieee_overflow 0
		.amdhsa_exception_fp_ieee_underflow 0
		.amdhsa_exception_fp_ieee_inexact 0
		.amdhsa_exception_int_div_zero 0
	.end_amdhsa_kernel
	.text
.Lfunc_end0:
	.size	bluestein_single_back_len825_dim1_dp_op_CI_CI, .Lfunc_end0-bluestein_single_back_len825_dim1_dp_op_CI_CI
                                        ; -- End function
	.section	.AMDGPU.csdata,"",@progbits
; Kernel info:
; codeLenInByte = 25820
; NumSgprs: 42
; NumVgprs: 256
; ScratchSize: 308
; MemoryBound: 0
; FloatMode: 240
; IeeeMode: 1
; LDSByteSize: 13200 bytes/workgroup (compile time only)
; SGPRBlocks: 5
; VGPRBlocks: 31
; NumSGPRsForWavesPerEU: 42
; NumVGPRsForWavesPerEU: 256
; Occupancy: 5
; WaveLimiterHint : 1
; COMPUTE_PGM_RSRC2:SCRATCH_EN: 1
; COMPUTE_PGM_RSRC2:USER_SGPR: 2
; COMPUTE_PGM_RSRC2:TRAP_HANDLER: 0
; COMPUTE_PGM_RSRC2:TGID_X_EN: 1
; COMPUTE_PGM_RSRC2:TGID_Y_EN: 0
; COMPUTE_PGM_RSRC2:TGID_Z_EN: 0
; COMPUTE_PGM_RSRC2:TIDIG_COMP_CNT: 0
	.text
	.p2alignl 7, 3214868480
	.fill 96, 4, 3214868480
	.type	__hip_cuid_99e2585ae03b4552,@object ; @__hip_cuid_99e2585ae03b4552
	.section	.bss,"aw",@nobits
	.globl	__hip_cuid_99e2585ae03b4552
__hip_cuid_99e2585ae03b4552:
	.byte	0                               ; 0x0
	.size	__hip_cuid_99e2585ae03b4552, 1

	.ident	"AMD clang version 19.0.0git (https://github.com/RadeonOpenCompute/llvm-project roc-6.4.0 25133 c7fe45cf4b819c5991fe208aaa96edf142730f1d)"
	.section	".note.GNU-stack","",@progbits
	.addrsig
	.addrsig_sym __hip_cuid_99e2585ae03b4552
	.amdgpu_metadata
---
amdhsa.kernels:
  - .args:
      - .actual_access:  read_only
        .address_space:  global
        .offset:         0
        .size:           8
        .value_kind:     global_buffer
      - .actual_access:  read_only
        .address_space:  global
        .offset:         8
        .size:           8
        .value_kind:     global_buffer
      - .actual_access:  read_only
        .address_space:  global
        .offset:         16
        .size:           8
        .value_kind:     global_buffer
      - .actual_access:  read_only
        .address_space:  global
        .offset:         24
        .size:           8
        .value_kind:     global_buffer
      - .actual_access:  read_only
        .address_space:  global
        .offset:         32
        .size:           8
        .value_kind:     global_buffer
      - .offset:         40
        .size:           8
        .value_kind:     by_value
      - .address_space:  global
        .offset:         48
        .size:           8
        .value_kind:     global_buffer
      - .address_space:  global
        .offset:         56
        .size:           8
        .value_kind:     global_buffer
      - .address_space:  global
        .offset:         64
        .size:           8
        .value_kind:     global_buffer
      - .address_space:  global
        .offset:         72
        .size:           8
        .value_kind:     global_buffer
      - .offset:         80
        .size:           4
        .value_kind:     by_value
      - .address_space:  global
        .offset:         88
        .size:           8
        .value_kind:     global_buffer
      - .address_space:  global
        .offset:         96
        .size:           8
        .value_kind:     global_buffer
    .group_segment_fixed_size: 13200
    .kernarg_segment_align: 8
    .kernarg_segment_size: 104
    .language:       OpenCL C
    .language_version:
      - 2
      - 0
    .max_flat_workgroup_size: 55
    .name:           bluestein_single_back_len825_dim1_dp_op_CI_CI
    .private_segment_fixed_size: 308
    .sgpr_count:     42
    .sgpr_spill_count: 0
    .symbol:         bluestein_single_back_len825_dim1_dp_op_CI_CI.kd
    .uniform_work_group_size: 1
    .uses_dynamic_stack: false
    .vgpr_count:     256
    .vgpr_spill_count: 100
    .wavefront_size: 32
    .workgroup_processor_mode: 1
amdhsa.target:   amdgcn-amd-amdhsa--gfx1201
amdhsa.version:
  - 1
  - 2
...

	.end_amdgpu_metadata
